;; amdgpu-corpus repo=ROCm/rocFFT kind=compiled arch=gfx950 opt=O3
	.text
	.amdgcn_target "amdgcn-amd-amdhsa--gfx950"
	.amdhsa_code_object_version 6
	.protected	bluestein_single_back_len315_dim1_half_op_CI_CI ; -- Begin function bluestein_single_back_len315_dim1_half_op_CI_CI
	.globl	bluestein_single_back_len315_dim1_half_op_CI_CI
	.p2align	8
	.type	bluestein_single_back_len315_dim1_half_op_CI_CI,@function
bluestein_single_back_len315_dim1_half_op_CI_CI: ; @bluestein_single_back_len315_dim1_half_op_CI_CI
; %bb.0:
	s_load_dwordx4 s[8:11], s[0:1], 0x28
	v_mul_u32_u24_e32 v1, 0x411, v0
	v_add_u32_sdwa v4, s2, v1 dst_sel:DWORD dst_unused:UNUSED_PAD src0_sel:DWORD src1_sel:WORD_1
	v_mov_b32_e32 v5, 0
	s_waitcnt lgkmcnt(0)
	v_cmp_gt_u64_e32 vcc, s[8:9], v[4:5]
	s_and_saveexec_b64 s[2:3], vcc
	s_cbranch_execz .LBB0_31
; %bb.1:
	s_load_dwordx2 s[2:3], s[0:1], 0x0
	s_load_dwordx2 s[12:13], s[0:1], 0x38
	v_mov_b32_e32 v2, 63
	v_mul_lo_u16_sdwa v1, v1, v2 dst_sel:DWORD dst_unused:UNUSED_PAD src0_sel:WORD_1 src1_sel:DWORD
	v_sub_u16_e32 v20, v0, v1
	v_cmp_gt_u16_e32 vcc, 45, v20
	v_lshlrev_b32_e32 v5, 2, v20
	s_and_saveexec_b64 s[8:9], vcc
	s_cbranch_execz .LBB0_3
; %bb.2:
	s_load_dwordx2 s[4:5], s[0:1], 0x18
	v_mov_b32_e32 v0, s10
	v_mov_b32_e32 v1, s11
	s_waitcnt lgkmcnt(0)
	s_load_dwordx4 s[4:7], s[4:5], 0x0
	s_waitcnt lgkmcnt(0)
	v_mad_u64_u32 v[2:3], s[10:11], s6, v4, 0
	v_mad_u64_u32 v[6:7], s[10:11], s4, v20, 0
	v_mov_b32_e32 v8, v3
	v_mov_b32_e32 v10, v7
	v_mad_u64_u32 v[8:9], s[6:7], s7, v4, v[8:9]
	v_mov_b32_e32 v3, v8
	v_mad_u64_u32 v[8:9], s[6:7], s5, v20, v[10:11]
	v_mov_b32_e32 v7, v8
	v_lshl_add_u64 v[0:1], v[2:3], 2, v[0:1]
	v_lshl_add_u64 v[0:1], v[6:7], 2, v[0:1]
	global_load_dword v2, v[0:1], off
	v_mov_b32_e32 v3, 0xb4
	global_load_dword v6, v5, s[2:3]
	v_mad_u64_u32 v[0:1], s[6:7], s4, v3, v[0:1]
	s_mul_i32 s10, s5, 0xb4
	v_add_u32_e32 v1, s10, v1
	global_load_dword v7, v[0:1], off
	global_load_dword v8, v5, s[2:3] offset:180
	v_mad_u64_u32 v[0:1], s[6:7], s4, v3, v[0:1]
	v_add_u32_e32 v1, s10, v1
	global_load_dword v9, v[0:1], off
	global_load_dword v10, v5, s[2:3] offset:360
	v_mad_u64_u32 v[0:1], s[6:7], s4, v3, v[0:1]
	;; [unrolled: 4-line block ×5, first 2 shown]
	v_add_u32_e32 v1, s10, v1
	global_load_dword v3, v[0:1], off
	global_load_dword v17, v5, s[2:3] offset:1080
	s_waitcnt vmcnt(13)
	v_lshrrev_b32_e32 v0, 16, v2
	s_waitcnt vmcnt(12)
	v_mul_f16_sdwa v1, v6, v2 dst_sel:DWORD dst_unused:UNUSED_PAD src0_sel:WORD_1 src1_sel:DWORD
	v_mul_f16_sdwa v18, v6, v0 dst_sel:DWORD dst_unused:UNUSED_PAD src0_sel:WORD_1 src1_sel:DWORD
	v_fma_f16 v0, v6, v0, -v1
	v_fma_f16 v1, v6, v2, v18
	s_waitcnt vmcnt(11)
	v_lshrrev_b32_e32 v2, 16, v7
	s_waitcnt vmcnt(10)
	v_mul_f16_sdwa v6, v8, v7 dst_sel:DWORD dst_unused:UNUSED_PAD src0_sel:WORD_1 src1_sel:DWORD
	v_pack_b32_f16 v0, v1, v0
	v_mul_f16_sdwa v1, v8, v2 dst_sel:DWORD dst_unused:UNUSED_PAD src0_sel:WORD_1 src1_sel:DWORD
	v_fma_f16 v2, v8, v2, -v6
	v_fma_f16 v1, v8, v7, v1
	s_waitcnt vmcnt(9)
	v_lshrrev_b32_e32 v6, 16, v9
	s_waitcnt vmcnt(8)
	v_mul_f16_sdwa v7, v10, v9 dst_sel:DWORD dst_unused:UNUSED_PAD src0_sel:WORD_1 src1_sel:DWORD
	v_pack_b32_f16 v1, v1, v2
	v_mul_f16_sdwa v2, v10, v6 dst_sel:DWORD dst_unused:UNUSED_PAD src0_sel:WORD_1 src1_sel:DWORD
	v_fma_f16 v6, v10, v6, -v7
	ds_write2_b32 v5, v0, v1 offset1:45
	v_fma_f16 v0, v10, v9, v2
	s_waitcnt vmcnt(7)
	v_lshrrev_b32_e32 v1, 16, v11
	s_waitcnt vmcnt(6)
	v_mul_f16_sdwa v2, v12, v11 dst_sel:DWORD dst_unused:UNUSED_PAD src0_sel:WORD_1 src1_sel:DWORD
	v_pack_b32_f16 v0, v0, v6
	v_mul_f16_sdwa v6, v12, v1 dst_sel:DWORD dst_unused:UNUSED_PAD src0_sel:WORD_1 src1_sel:DWORD
	v_fma_f16 v1, v12, v1, -v2
	v_fma_f16 v2, v12, v11, v6
	s_waitcnt vmcnt(5)
	v_lshrrev_b32_e32 v6, 16, v13
	s_waitcnt vmcnt(4)
	v_mul_f16_sdwa v7, v14, v13 dst_sel:DWORD dst_unused:UNUSED_PAD src0_sel:WORD_1 src1_sel:DWORD
	v_pack_b32_f16 v1, v2, v1
	v_mul_f16_sdwa v2, v14, v6 dst_sel:DWORD dst_unused:UNUSED_PAD src0_sel:WORD_1 src1_sel:DWORD
	v_fma_f16 v6, v14, v6, -v7
	ds_write2_b32 v5, v0, v1 offset0:90 offset1:135
	v_fma_f16 v0, v14, v13, v2
	s_waitcnt vmcnt(3)
	v_lshrrev_b32_e32 v1, 16, v15
	s_waitcnt vmcnt(2)
	v_mul_f16_sdwa v2, v16, v15 dst_sel:DWORD dst_unused:UNUSED_PAD src0_sel:WORD_1 src1_sel:DWORD
	v_pack_b32_f16 v0, v0, v6
	v_mul_f16_sdwa v6, v16, v1 dst_sel:DWORD dst_unused:UNUSED_PAD src0_sel:WORD_1 src1_sel:DWORD
	v_fma_f16 v1, v16, v1, -v2
	v_fma_f16 v2, v16, v15, v6
	s_waitcnt vmcnt(1)
	v_lshrrev_b32_e32 v6, 16, v3
	s_waitcnt vmcnt(0)
	v_mul_f16_sdwa v7, v17, v3 dst_sel:DWORD dst_unused:UNUSED_PAD src0_sel:WORD_1 src1_sel:DWORD
	v_pack_b32_f16 v1, v2, v1
	v_mul_f16_sdwa v2, v17, v6 dst_sel:DWORD dst_unused:UNUSED_PAD src0_sel:WORD_1 src1_sel:DWORD
	ds_write2_b32 v5, v0, v1 offset0:180 offset1:225
	v_fma_f16 v0, v17, v3, v2
	v_fma_f16 v1, v17, v6, -v7
	v_pack_b32_f16 v0, v0, v1
	ds_write_b32 v5, v0 offset:1080
.LBB0_3:
	s_or_b64 exec, exec, s[8:9]
	v_mov_b32_e32 v1, 0
	v_mov_b32_e32 v2, 0
	;; [unrolled: 1-line block ×4, first 2 shown]
	s_waitcnt lgkmcnt(0)
	; wave barrier
	s_waitcnt lgkmcnt(0)
                                        ; implicit-def: $vgpr8
                                        ; implicit-def: $vgpr9
                                        ; implicit-def: $vgpr3
	s_and_saveexec_b64 s[4:5], vcc
	s_cbranch_execz .LBB0_5
; %bb.4:
	ds_read_b32 v9, v5 offset:1080
	ds_read2_b32 v[2:3], v5 offset0:90 offset1:135
	ds_read2_b32 v[6:7], v5 offset0:180 offset1:225
	ds_read2_b32 v[0:1], v5 offset1:45
	s_mov_b32 s6, 0xffff
	s_waitcnt lgkmcnt(0)
	v_lshrrev_b32_e32 v8, 16, v9
	v_bfi_b32 v9, s6, v9, v3
	v_bfi_b32 v3, s6, v3, v7
.LBB0_5:
	s_or_b64 exec, exec, s[4:5]
	s_mov_b32 s8, 0xffff
	v_bfi_b32 v12, s8, v1, v6
	v_bfi_b32 v14, s8, v6, v2
	s_mov_b32 s9, 0x5040100
	v_add_f16_sdwa v10, v8, v1 dst_sel:DWORD dst_unused:UNUSED_PAD src0_sel:DWORD src1_sel:WORD_1
	v_add_f16_e32 v11, v7, v2
	v_pk_add_f16 v13, v12, v9 neg_lo:[0,1] neg_hi:[0,1]
	v_pk_add_f16 v15, v14, v3 neg_lo:[0,1] neg_hi:[0,1]
	v_pk_add_f16 v14, v3, v14
	v_pk_add_f16 v12, v9, v12
	v_alignbit_b32 v1, v6, v1, 16
	v_perm_b32 v3, v3, v8, s9
	v_pk_add_f16 v1, v1, v3 neg_lo:[0,1] neg_hi:[0,1]
	v_alignbit_b32 v2, v2, v6, 16
	v_alignbit_b32 v3, v7, v9, 16
	v_pack_b32_f16 v8, v14, v10
	v_bfi_b32 v9, s8, v11, v12
	s_load_dwordx2 s[6:7], s[0:1], 0x20
	s_load_dwordx2 s[4:5], s[0:1], 0x8
	v_pk_add_f16 v2, v2, v3 neg_lo:[0,1] neg_hi:[0,1]
	v_pack_b32_f16 v3, v12, v10
	v_bfi_b32 v6, s8, v11, v14
	v_pk_add_f16 v8, v8, v9 neg_lo:[0,1] neg_hi:[0,1]
	s_mov_b32 s0, 0x7060302
	s_mov_b32 s1, 0x3a522b26
	v_pk_add_f16 v7, v3, v6
	v_pk_add_f16 v9, v12, v14 neg_lo:[0,1] neg_hi:[0,1]
	v_perm_b32 v10, v1, v15, s0
	v_pack_b32_f16 v16, v2, v13
	v_bfi_b32 v12, s8, v14, v12
	v_pk_mul_f16 v8, v8, s1
	s_mov_b32 s1, 0x2b263a52
	v_pk_add_f16 v11, v10, v2
	v_pk_add_f16 v10, v16, v10 neg_lo:[0,1] neg_hi:[0,1]
	v_pk_add_f16 v16, v1, v2 neg_lo:[0,1] neg_hi:[0,1]
	v_pk_add_f16 v7, v7, v12
	v_pack_b32_f16 v1, v1, v13
	v_pk_mul_f16 v12, v9, s1
	s_mov_b32 s11, 0x3574b846
	v_perm_b32 v2, v2, v15, s0
	v_pk_add_f16 v11, v1, v11
	v_pk_add_f16 v0, v7, v0
	v_pk_mul_f16 v10, v10, s11
	s_mov_b32 s11, 0xbcab
	v_pk_add_f16 v3, v6, v3 neg_lo:[0,1] neg_hi:[0,1]
	v_pk_add_f16 v1, v2, v1 neg_lo:[0,1] neg_hi:[0,1]
	v_bfi_b32 v2, s8, v8, v12
	s_movk_i32 s0, 0x39e0
	s_mov_b32 s10, 0xb8463574
	v_pk_fma_f16 v7, v7, s11, v0 op_sel_hi:[1,0,1]
	v_pk_fma_f16 v2, v3, s0, v2 op_sel_hi:[1,0,1] neg_lo:[0,0,1] neg_hi:[0,0,1]
	v_pk_mul_f16 v13, v16, s10
	v_pk_add_f16 v15, v2, v7
	v_bfi_b32 v2, s8, v12, v8
	v_pk_fma_f16 v14, v16, s10, v10
	v_bfi_b32 v6, s8, v10, v13
	s_movk_i32 s10, 0x3b00
	v_pk_fma_f16 v2, v3, s0, v2 op_sel_hi:[1,0,1] neg_lo:[1,0,1] neg_hi:[1,0,1]
	v_bfi_b32 v3, s8, v13, v10
	v_pk_fma_f16 v9, v9, s1, v8
	s_movk_i32 s1, 0x370e
	v_pk_fma_f16 v6, v1, s10, v6 op_sel_hi:[1,0,1] neg_lo:[0,0,1] neg_hi:[0,0,1]
	v_pk_fma_f16 v1, v1, s10, v3 op_sel_hi:[1,0,1] neg_lo:[1,0,1] neg_hi:[1,0,1]
	v_pk_add_f16 v9, v9, v7
	v_pk_fma_f16 v14, v11, s1, v14 op_sel_hi:[1,0,1]
	v_pk_fma_f16 v6, v11, s1, v6 op_sel_hi:[1,0,1]
	v_pk_add_f16 v7, v2, v7
	v_pk_fma_f16 v1, v11, s1, v1 op_sel_hi:[1,0,1]
	v_pk_add_f16 v2, v15, v6 neg_lo:[0,1] neg_hi:[0,1]
	v_pk_add_f16 v3, v15, v6
	v_pk_add_f16 v11, v7, v1 neg_lo:[0,1] neg_hi:[0,1]
	v_pk_add_f16 v6, v7, v1
	v_pk_add_f16 v1, v9, v14
	v_pk_add_f16 v7, v9, v14 neg_lo:[0,1] neg_hi:[0,1]
	v_lshrrev_b32_e32 v12, 16, v2
	v_bfi_b32 v27, s8, v7, v1
	v_mul_lo_u16_e32 v23, 7, v20
	s_waitcnt lgkmcnt(0)
	; wave barrier
	s_waitcnt lgkmcnt(0)
	s_and_saveexec_b64 s[0:1], vcc
	s_cbranch_execz .LBB0_7
; %bb.6:
	v_lshlrev_b32_e32 v9, 2, v23
	ds_write_b32 v9, v0
	v_bfi_b32 v0, s8, v6, v11
	v_bfi_b32 v1, s8, v1, v7
	ds_write2_b32 v9, v1, v0 offset0:1 offset1:2
	v_bfi_b32 v0, s8, v2, v3
	v_perm_b32 v1, v12, v3, s9
	v_bfi_b32 v8, s8, v11, v6
	ds_write2_b32 v9, v0, v1 offset0:3 offset1:4
	ds_write2_b32 v9, v8, v27 offset0:5 offset1:6
.LBB0_7:
	s_or_b64 exec, exec, s[0:1]
	s_waitcnt lgkmcnt(0)
	; wave barrier
	s_waitcnt lgkmcnt(0)
	ds_read2_b32 v[0:1], v5 offset1:105
	ds_read_b32 v14, v5 offset:840
	v_cmp_gt_u16_e64 s[0:1], 42, v20
	v_lshrrev_b32_e32 v13, 16, v3
	v_lshrrev_b32_e32 v15, 16, v6
	s_and_saveexec_b64 s[8:9], s[0:1]
	s_cbranch_execz .LBB0_9
; %bb.8:
	ds_read2_b32 v[2:3], v5 offset0:63 offset1:168
	ds_read_b32 v11, v5 offset:1092
	s_waitcnt lgkmcnt(1)
	v_lshrrev_b32_e32 v13, 16, v2
	v_lshrrev_b32_e32 v12, 16, v3
	s_waitcnt lgkmcnt(0)
	v_lshrrev_b32_e32 v15, 16, v11
.LBB0_9:
	s_or_b64 exec, exec, s[8:9]
	v_mov_b32_e32 v6, 37
	v_mul_lo_u16_sdwa v7, v20, v6 dst_sel:DWORD dst_unused:UNUSED_PAD src0_sel:BYTE_0 src1_sel:DWORD
	v_sub_u16_sdwa v8, v20, v7 dst_sel:DWORD dst_unused:UNUSED_PAD src0_sel:DWORD src1_sel:BYTE_1
	v_lshrrev_b16_e32 v8, 1, v8
	v_add_u16_e32 v10, 63, v20
	v_and_b32_e32 v8, 0x7f, v8
	v_mul_lo_u16_sdwa v6, v10, v6 dst_sel:DWORD dst_unused:UNUSED_PAD src0_sel:BYTE_0 src1_sel:DWORD
	v_add_u16_sdwa v7, v8, v7 dst_sel:DWORD dst_unused:UNUSED_PAD src0_sel:DWORD src1_sel:BYTE_1
	v_sub_u16_sdwa v8, v10, v6 dst_sel:DWORD dst_unused:UNUSED_PAD src0_sel:DWORD src1_sel:BYTE_1
	v_lshrrev_b16_e32 v8, 1, v8
	v_and_b32_e32 v8, 0x7f, v8
	v_lshrrev_b16_e32 v16, 2, v7
	v_add_u16_sdwa v6, v8, v6 dst_sel:DWORD dst_unused:UNUSED_PAD src0_sel:DWORD src1_sel:BYTE_1
	v_mul_lo_u16_e32 v7, 7, v16
	v_lshrrev_b16_e32 v21, 2, v6
	v_sub_u16_e32 v7, v20, v7
	v_mul_lo_u16_e32 v6, 7, v21
	v_and_b32_e32 v17, 0xff, v7
	v_sub_u16_e32 v6, v10, v6
	v_lshlrev_b32_e32 v7, 3, v17
	v_and_b32_e32 v22, 0xff, v6
	global_load_dwordx2 v[8:9], v7, s[4:5]
	v_lshlrev_b32_e32 v6, 3, v22
	global_load_dwordx2 v[6:7], v6, s[4:5]
	s_waitcnt lgkmcnt(1)
	v_lshrrev_b32_e32 v19, 16, v1
	s_waitcnt lgkmcnt(0)
	v_lshrrev_b32_e32 v25, 16, v14
	v_mul_u32_u24_e32 v16, 21, v16
	v_add_lshl_u32 v24, v16, v17, 2
	s_load_dwordx4 s[8:11], s[6:7], 0x0
	v_lshrrev_b32_e32 v18, 16, v0
	s_movk_i32 s6, 0x3aee
	s_mov_b32 s7, 0xbaee
	s_waitcnt lgkmcnt(0)
	; wave barrier
	s_waitcnt vmcnt(1) lgkmcnt(0)
	v_mul_f16_sdwa v16, v19, v8 dst_sel:DWORD dst_unused:UNUSED_PAD src0_sel:DWORD src1_sel:WORD_1
	v_mul_f16_sdwa v17, v1, v8 dst_sel:DWORD dst_unused:UNUSED_PAD src0_sel:DWORD src1_sel:WORD_1
	;; [unrolled: 1-line block ×4, first 2 shown]
	s_waitcnt vmcnt(0)
	v_mul_f16_sdwa v29, v12, v6 dst_sel:DWORD dst_unused:UNUSED_PAD src0_sel:DWORD src1_sel:WORD_1
	v_mul_f16_sdwa v30, v3, v6 dst_sel:DWORD dst_unused:UNUSED_PAD src0_sel:DWORD src1_sel:WORD_1
	;; [unrolled: 1-line block ×4, first 2 shown]
	v_fma_f16 v1, v1, v8, -v16
	v_fma_f16 v16, v19, v8, v17
	v_fma_f16 v14, v14, v9, -v26
	v_fma_f16 v17, v25, v9, v28
	v_fma_f16 v3, v3, v6, -v29
	v_fma_f16 v12, v12, v6, v30
	v_fma_f16 v11, v11, v7, -v31
	v_fma_f16 v15, v15, v7, v32
	v_add_f16_e32 v25, v1, v14
	v_sub_f16_e32 v26, v16, v17
	v_add_f16_e32 v28, v18, v16
	v_add_f16_e32 v16, v16, v17
	;; [unrolled: 1-line block ×3, first 2 shown]
	v_sub_f16_e32 v1, v1, v14
	v_add_f16_e32 v29, v2, v3
	v_add_f16_e32 v30, v3, v11
	v_sub_f16_e32 v31, v12, v15
	v_add_f16_e32 v32, v13, v12
	v_add_f16_e32 v12, v12, v15
	v_fma_f16 v25, v25, -0.5, v0
	v_fma_f16 v16, v16, -0.5, v18
	v_sub_f16_e32 v3, v3, v11
	v_add_f16_e32 v19, v19, v14
	v_add_f16_e32 v28, v28, v17
	;; [unrolled: 1-line block ×3, first 2 shown]
	v_fma_f16 v2, v30, -0.5, v2
	v_fma_f16 v11, v12, -0.5, v13
	v_fma_f16 v12, v26, s6, v25
	v_fma_f16 v18, v1, s7, v16
	v_add_f16_e32 v14, v32, v15
	v_fma_f16 v13, v26, s7, v25
	v_fma_f16 v25, v1, s6, v16
	;; [unrolled: 1-line block ×6, first 2 shown]
	v_pack_b32_f16 v2, v19, v28
	v_pack_b32_f16 v3, v12, v18
	;; [unrolled: 1-line block ×3, first 2 shown]
	ds_write2_b32 v24, v2, v3 offset1:7
	ds_write_b32 v24, v11 offset:56
	s_and_saveexec_b64 s[6:7], s[0:1]
	s_cbranch_execz .LBB0_11
; %bb.10:
	v_mul_u32_u24_e32 v2, 21, v21
	s_mov_b32 s14, 0x5040100
	v_add_lshl_u32 v2, v2, v22, 2
	v_perm_b32 v3, v14, v0, s14
	v_perm_b32 v11, v16, v1, s14
	ds_write2_b32 v2, v3, v11 offset1:7
	v_perm_b32 v3, v17, v15, s14
	ds_write_b32 v2, v3 offset:56
.LBB0_11:
	s_or_b64 exec, exec, s[6:7]
	s_waitcnt lgkmcnt(0)
	; wave barrier
	s_waitcnt lgkmcnt(0)
	ds_read2_b32 v[2:3], v5 offset1:105
	ds_read_b32 v18, v5 offset:840
	s_and_saveexec_b64 s[6:7], s[0:1]
	s_cbranch_execz .LBB0_13
; %bb.12:
	ds_read2_b32 v[0:1], v5 offset0:63 offset1:168
	ds_read_b32 v15, v5 offset:1092
	s_waitcnt lgkmcnt(1)
	v_lshrrev_b32_e32 v14, 16, v0
	v_lshrrev_b32_e32 v16, 16, v1
	s_waitcnt lgkmcnt(0)
	v_lshrrev_b32_e32 v17, 16, v15
.LBB0_13:
	s_or_b64 exec, exec, s[6:7]
	s_movk_i32 s6, 0x87
	v_mul_lo_u16_sdwa v11, v20, s6 dst_sel:DWORD dst_unused:UNUSED_PAD src0_sel:BYTE_0 src1_sel:DWORD
	v_sub_u16_sdwa v12, v20, v11 dst_sel:DWORD dst_unused:UNUSED_PAD src0_sel:DWORD src1_sel:BYTE_1
	v_lshrrev_b16_e32 v12, 1, v12
	v_and_b32_e32 v12, 0x7f, v12
	v_add_u16_sdwa v11, v12, v11 dst_sel:DWORD dst_unused:UNUSED_PAD src0_sel:DWORD src1_sel:BYTE_1
	v_lshrrev_b16_e32 v11, 4, v11
	v_and_b32_e32 v19, 15, v11
	v_mul_lo_u16_e32 v11, 21, v19
	v_sub_u16_e32 v28, v20, v11
	v_lshlrev_b16_e32 v11, 3, v28
	v_and_b32_e32 v12, 0xf8, v11
	v_mul_lo_u16_sdwa v11, v10, s6 dst_sel:DWORD dst_unused:UNUSED_PAD src0_sel:BYTE_0 src1_sel:DWORD
	v_sub_u16_sdwa v25, v10, v11 dst_sel:DWORD dst_unused:UNUSED_PAD src0_sel:DWORD src1_sel:BYTE_1
	v_lshrrev_b16_e32 v25, 1, v25
	v_and_b32_e32 v25, 0x7f, v25
	v_add_u16_sdwa v11, v25, v11 dst_sel:DWORD dst_unused:UNUSED_PAD src0_sel:DWORD src1_sel:BYTE_1
	v_lshrrev_b16_e32 v11, 4, v11
	v_and_b32_e32 v25, 15, v11
	v_mul_lo_u16_e32 v11, 21, v25
	v_mov_b32_e32 v13, 0
	v_sub_u16_e32 v10, v10, v11
	v_lshl_add_u64 v[12:13], s[4:5], 0, v[12:13]
	v_and_b32_e32 v26, 0xff, v10
	global_load_dwordx2 v[12:13], v[12:13], off offset:56
	v_lshlrev_b32_e32 v10, 3, v26
	global_load_dwordx2 v[10:11], v10, s[4:5] offset:56
	s_waitcnt lgkmcnt(1)
	v_lshrrev_b32_e32 v30, 16, v3
	s_waitcnt lgkmcnt(0)
	v_lshrrev_b32_e32 v31, 16, v18
	v_mov_b32_e32 v32, 2
	v_mad_legacy_u16 v19, v19, 63, v28
	v_lshlrev_b32_sdwa v28, v32, v19 dst_sel:DWORD dst_unused:UNUSED_PAD src0_sel:DWORD src1_sel:BYTE_0
	v_lshrrev_b32_e32 v29, 16, v2
	s_movk_i32 s6, 0x3aee
	s_mov_b32 s7, 0xbaee
	s_waitcnt lgkmcnt(0)
	; wave barrier
	s_waitcnt vmcnt(1)
	v_mul_f16_sdwa v19, v30, v12 dst_sel:DWORD dst_unused:UNUSED_PAD src0_sel:DWORD src1_sel:WORD_1
	v_mul_f16_sdwa v32, v3, v12 dst_sel:DWORD dst_unused:UNUSED_PAD src0_sel:DWORD src1_sel:WORD_1
	;; [unrolled: 1-line block ×4, first 2 shown]
	s_waitcnt vmcnt(0)
	v_mul_f16_sdwa v35, v16, v10 dst_sel:DWORD dst_unused:UNUSED_PAD src0_sel:DWORD src1_sel:WORD_1
	v_mul_f16_sdwa v36, v1, v10 dst_sel:DWORD dst_unused:UNUSED_PAD src0_sel:DWORD src1_sel:WORD_1
	;; [unrolled: 1-line block ×4, first 2 shown]
	v_fma_f16 v19, v3, v12, -v19
	v_fma_f16 v30, v30, v12, v32
	v_fma_f16 v32, v18, v13, -v33
	v_fma_f16 v31, v31, v13, v34
	;; [unrolled: 2-line block ×4, first 2 shown]
	v_add_f16_e32 v15, v2, v19
	v_add_f16_e32 v33, v19, v32
	v_sub_f16_e32 v34, v30, v31
	v_add_f16_e32 v35, v29, v30
	v_add_f16_e32 v30, v30, v31
	v_sub_f16_e32 v36, v19, v32
	v_add_f16_e32 v37, v1, v3
	v_add_f16_e32 v38, v16, v17
	;; [unrolled: 1-line block ×3, first 2 shown]
	v_fma_f16 v15, v33, -0.5, v2
	v_fma_f16 v29, v30, -0.5, v29
	v_sub_f16_e32 v18, v16, v17
	v_sub_f16_e32 v19, v1, v3
	v_add_f16_e32 v31, v35, v31
	v_fma_f16 v2, v37, -0.5, v0
	v_fma_f16 v30, v38, -0.5, v14
	v_fma_f16 v33, v34, s6, v15
	v_fma_f16 v35, v36, s7, v29
	;; [unrolled: 1-line block ×6, first 2 shown]
	v_pack_b32_f16 v31, v32, v31
	v_pack_b32_f16 v32, v33, v35
	;; [unrolled: 1-line block ×3, first 2 shown]
	ds_write2_b32 v28, v31, v32 offset1:21
	ds_write_b32 v28, v33 offset:168
	s_and_saveexec_b64 s[6:7], s[0:1]
	s_cbranch_execz .LBB0_15
; %bb.14:
	v_mul_f16_e32 v18, 0x3aee, v18
	v_mul_f16_e32 v19, 0x3aee, v19
	v_add_f16_e32 v14, v14, v16
	v_add_f16_e32 v0, v0, v1
	v_mov_b32_e32 v1, 63
	v_sub_f16_e32 v19, v30, v19
	v_add_f16_e32 v2, v18, v2
	v_add_f16_e32 v14, v14, v17
	;; [unrolled: 1-line block ×3, first 2 shown]
	v_mul_u32_u24_sdwa v1, v25, v1 dst_sel:DWORD dst_unused:UNUSED_PAD src0_sel:WORD_0 src1_sel:DWORD
	v_add_lshl_u32 v1, v1, v26, 2
	v_pack_b32_f16 v0, v0, v14
	v_pack_b32_f16 v2, v2, v19
	s_mov_b32 s14, 0x5040100
	ds_write2_b32 v1, v0, v2 offset1:21
	v_perm_b32 v0, v29, v15, s14
	ds_write_b32 v1, v0 offset:168
.LBB0_15:
	s_or_b64 exec, exec, s[6:7]
	v_lshlrev_b32_e32 v0, 4, v20
	s_waitcnt lgkmcnt(0)
	; wave barrier
	s_waitcnt lgkmcnt(0)
	global_load_dwordx4 v[0:3], v0, s[4:5] offset:224
	ds_read_b32 v14, v5
	ds_read2_b32 v[16:17], v5 offset0:63 offset1:126
	ds_read2_b32 v[18:19], v5 offset0:189 offset1:252
	s_movk_i32 s4, 0x3b9c
	s_mov_b32 s7, 0xbb9c
	s_waitcnt lgkmcnt(2)
	v_lshrrev_b32_e32 v30, 16, v14
	s_waitcnt lgkmcnt(1)
	v_lshrrev_b32_e32 v31, 16, v16
	v_lshrrev_b32_e32 v32, 16, v17
	s_waitcnt lgkmcnt(0)
	v_lshrrev_b32_e32 v33, 16, v18
	v_lshrrev_b32_e32 v34, 16, v19
	s_movk_i32 s5, 0x38b4
	s_mov_b32 s14, 0xb8b4
	s_movk_i32 s6, 0x34f2
	s_waitcnt vmcnt(0)
	v_mul_f16_sdwa v35, v31, v0 dst_sel:DWORD dst_unused:UNUSED_PAD src0_sel:DWORD src1_sel:WORD_1
	v_mul_f16_sdwa v36, v16, v0 dst_sel:DWORD dst_unused:UNUSED_PAD src0_sel:DWORD src1_sel:WORD_1
	;; [unrolled: 1-line block ×8, first 2 shown]
	v_fma_f16 v16, v16, v0, -v35
	v_fma_f16 v31, v31, v0, v36
	v_fma_f16 v17, v17, v1, -v37
	v_fma_f16 v32, v32, v1, v38
	v_fma_f16 v18, v18, v2, -v39
	v_fma_f16 v33, v33, v2, v40
	v_fma_f16 v19, v19, v3, -v41
	v_fma_f16 v34, v34, v3, v42
	v_add_f16_e32 v35, v14, v16
	v_add_f16_e32 v36, v17, v18
	v_sub_f16_e32 v39, v16, v17
	v_sub_f16_e32 v40, v19, v18
	v_add_f16_e32 v41, v16, v19
	v_sub_f16_e32 v42, v17, v16
	v_add_f16_e32 v44, v30, v31
	v_add_f16_e32 v45, v32, v33
	v_sub_f16_e32 v46, v16, v19
	v_sub_f16_e32 v16, v31, v32
	;; [unrolled: 1-line block ×3, first 2 shown]
	v_add_f16_e32 v49, v31, v34
	v_sub_f16_e32 v37, v31, v34
	v_sub_f16_e32 v38, v32, v33
	v_sub_f16_e32 v43, v18, v19
	v_sub_f16_e32 v47, v17, v18
	v_sub_f16_e32 v31, v32, v31
	v_sub_f16_e32 v50, v33, v34
	v_add_f16_e32 v17, v35, v17
	v_fma_f16 v35, v36, -0.5, v14
	v_add_f16_e32 v36, v39, v40
	v_fma_f16 v14, v41, -0.5, v14
	v_add_f16_e32 v32, v44, v32
	v_fma_f16 v40, v45, -0.5, v30
	v_add_f16_e32 v41, v16, v48
	v_fma_f16 v16, v49, -0.5, v30
	v_add_f16_e32 v39, v42, v43
	v_add_f16_e32 v42, v31, v50
	;; [unrolled: 1-line block ×3, first 2 shown]
	v_fma_f16 v18, v37, s4, v35
	v_fma_f16 v30, v37, s7, v35
	v_fma_f16 v31, v38, s7, v14
	v_fma_f16 v14, v38, s4, v14
	v_add_f16_e32 v32, v32, v33
	v_fma_f16 v33, v46, s7, v40
	v_fma_f16 v35, v46, s4, v40
	v_fma_f16 v40, v47, s4, v16
	v_fma_f16 v43, v47, s7, v16
	v_add_f16_e32 v16, v17, v19
	;; [unrolled: 5-line block ×3, first 2 shown]
	v_fma_f16 v32, v47, s14, v33
	v_fma_f16 v33, v47, s5, v35
	;; [unrolled: 1-line block ×11, first 2 shown]
	v_pack_b32_f16 v35, v16, v30
	v_fma_f16 v32, v42, s6, v37
	ds_write_b32 v5, v35
	v_pack_b32_f16 v35, v17, v34
	ds_write_b32 v5, v35 offset:252
	v_pack_b32_f16 v35, v18, v33
	v_pack_b32_f16 v36, v19, v32
	ds_write2_b32 v5, v35, v36 offset0:126 offset1:189
	v_pack_b32_f16 v35, v14, v31
	ds_write_b32 v5, v35 offset:1008
	s_waitcnt lgkmcnt(0)
	; wave barrier
	s_waitcnt lgkmcnt(0)
	s_and_saveexec_b64 s[4:5], vcc
	s_cbranch_execz .LBB0_17
; %bb.16:
	global_load_dword v35, v5, s[2:3] offset:1260
	s_add_u32 s6, s2, 0x4ec
	s_addc_u32 s7, s3, 0
	global_load_dword v42, v5, s[6:7] offset:180
	global_load_dword v43, v5, s[6:7] offset:360
	;; [unrolled: 1-line block ×6, first 2 shown]
	ds_read_b32 v36, v5
	s_waitcnt lgkmcnt(0)
	v_lshrrev_b32_e32 v37, 16, v36
	s_waitcnt vmcnt(6)
	v_mul_f16_sdwa v38, v37, v35 dst_sel:DWORD dst_unused:UNUSED_PAD src0_sel:DWORD src1_sel:WORD_1
	v_mul_f16_sdwa v39, v36, v35 dst_sel:DWORD dst_unused:UNUSED_PAD src0_sel:DWORD src1_sel:WORD_1
	v_fma_f16 v36, v36, v35, -v38
	v_fma_f16 v35, v37, v35, v39
	v_pack_b32_f16 v35, v36, v35
	ds_write_b32 v5, v35
	ds_read2_b32 v[36:37], v5 offset0:45 offset1:90
	v_add_u32_e32 v35, 0x200, v5
	ds_read2_b32 v[38:39], v5 offset0:135 offset1:180
	ds_read2_b32 v[40:41], v35 offset0:97 offset1:142
	s_waitcnt lgkmcnt(2)
	v_lshrrev_b32_e32 v48, 16, v36
	s_waitcnt vmcnt(5)
	v_mul_f16_sdwa v49, v36, v42 dst_sel:DWORD dst_unused:UNUSED_PAD src0_sel:DWORD src1_sel:WORD_1
	v_lshrrev_b32_e32 v50, 16, v37
	s_waitcnt vmcnt(4)
	v_mul_f16_sdwa v51, v37, v43 dst_sel:DWORD dst_unused:UNUSED_PAD src0_sel:DWORD src1_sel:WORD_1
	s_waitcnt lgkmcnt(1)
	v_lshrrev_b32_e32 v52, 16, v38
	s_waitcnt vmcnt(3)
	v_mul_f16_sdwa v53, v38, v44 dst_sel:DWORD dst_unused:UNUSED_PAD src0_sel:DWORD src1_sel:WORD_1
	v_lshrrev_b32_e32 v54, 16, v39
	s_waitcnt vmcnt(2)
	v_mul_f16_sdwa v55, v39, v45 dst_sel:DWORD dst_unused:UNUSED_PAD src0_sel:DWORD src1_sel:WORD_1
	s_waitcnt lgkmcnt(0)
	v_lshrrev_b32_e32 v56, 16, v40
	s_waitcnt vmcnt(1)
	v_mul_f16_sdwa v57, v40, v46 dst_sel:DWORD dst_unused:UNUSED_PAD src0_sel:DWORD src1_sel:WORD_1
	v_lshrrev_b32_e32 v58, 16, v41
	v_mul_f16_sdwa v60, v48, v42 dst_sel:DWORD dst_unused:UNUSED_PAD src0_sel:DWORD src1_sel:WORD_1
	v_fma_f16 v48, v48, v42, v49
	v_mul_f16_sdwa v49, v50, v43 dst_sel:DWORD dst_unused:UNUSED_PAD src0_sel:DWORD src1_sel:WORD_1
	s_waitcnt vmcnt(0)
	v_mul_f16_sdwa v59, v41, v47 dst_sel:DWORD dst_unused:UNUSED_PAD src0_sel:DWORD src1_sel:WORD_1
	v_fma_f16 v50, v50, v43, v51
	v_mul_f16_sdwa v51, v52, v44 dst_sel:DWORD dst_unused:UNUSED_PAD src0_sel:DWORD src1_sel:WORD_1
	v_fma_f16 v52, v52, v44, v53
	;; [unrolled: 2-line block ×4, first 2 shown]
	v_mul_f16_sdwa v57, v58, v47 dst_sel:DWORD dst_unused:UNUSED_PAD src0_sel:DWORD src1_sel:WORD_1
	v_fma_f16 v36, v36, v42, -v60
	v_fma_f16 v37, v37, v43, -v49
	v_fma_f16 v58, v58, v47, v59
	v_fma_f16 v38, v38, v44, -v51
	v_fma_f16 v39, v39, v45, -v53
	;; [unrolled: 1-line block ×4, first 2 shown]
	v_pack_b32_f16 v36, v36, v48
	v_pack_b32_f16 v37, v37, v50
	v_pack_b32_f16 v38, v38, v52
	v_pack_b32_f16 v39, v39, v54
	v_pack_b32_f16 v40, v40, v56
	v_pack_b32_f16 v41, v41, v58
	ds_write2_b32 v5, v36, v37 offset0:45 offset1:90
	ds_write2_b32 v5, v38, v39 offset0:135 offset1:180
	;; [unrolled: 1-line block ×3, first 2 shown]
.LBB0_17:
	s_or_b64 exec, exec, s[4:5]
	s_waitcnt lgkmcnt(0)
	; wave barrier
	s_waitcnt lgkmcnt(0)
	s_and_saveexec_b64 s[4:5], vcc
	s_cbranch_execz .LBB0_19
; %bb.18:
	ds_read2_b32 v[16:17], v5 offset1:45
	ds_read2_b32 v[18:19], v5 offset0:90 offset1:135
	ds_read2_b32 v[14:15], v5 offset0:180 offset1:225
	ds_read_b32 v27, v5 offset:1080
	s_waitcnt lgkmcnt(3)
	v_lshrrev_b32_e32 v30, 16, v16
	v_lshrrev_b32_e32 v34, 16, v17
	s_waitcnt lgkmcnt(2)
	v_lshrrev_b32_e32 v33, 16, v18
	v_lshrrev_b32_e32 v32, 16, v19
	;; [unrolled: 3-line block ×3, first 2 shown]
.LBB0_19:
	s_or_b64 exec, exec, s[4:5]
	s_waitcnt lgkmcnt(0)
	v_add_f16_e32 v35, v27, v17
	v_add_f16_sdwa v36, v27, v34 dst_sel:DWORD dst_unused:UNUSED_PAD src0_sel:WORD_1 src1_sel:DWORD
	v_sub_f16_e32 v17, v17, v27
	v_sub_f16_sdwa v27, v34, v27 dst_sel:DWORD dst_unused:UNUSED_PAD src0_sel:DWORD src1_sel:WORD_1
	v_add_f16_e32 v34, v15, v18
	v_add_f16_e32 v37, v29, v33
	v_sub_f16_e32 v15, v18, v15
	v_sub_f16_e32 v18, v33, v29
	v_add_f16_e32 v29, v19, v14
	v_add_f16_e32 v33, v32, v31
	v_sub_f16_e32 v14, v14, v19
	v_sub_f16_e32 v19, v31, v32
	;; [unrolled: 4-line block ×3, first 2 shown]
	v_sub_f16_e32 v41, v29, v34
	v_sub_f16_e32 v44, v33, v37
	v_add_f16_e32 v34, v14, v15
	v_add_f16_e32 v37, v19, v18
	v_sub_f16_e32 v45, v14, v15
	v_sub_f16_e32 v46, v19, v18
	;; [unrolled: 1-line block ×6, first 2 shown]
	v_add_f16_e32 v18, v29, v38
	v_add_f16_e32 v19, v33, v39
	v_sub_f16_e32 v35, v35, v29
	v_sub_f16_e32 v40, v36, v33
	v_add_f16_e32 v36, v34, v17
	v_add_f16_e32 v16, v16, v18
	;; [unrolled: 1-line block ×3, first 2 shown]
	s_mov_b32 s6, 0xbcab
	v_mul_f16_e32 v30, 0x3a52, v35
	v_mul_f16_e32 v34, 0x3a52, v40
	;; [unrolled: 1-line block ×6, first 2 shown]
	s_mov_b32 s5, 0xbb00
	v_fma_f16 v40, v18, s6, v16
	v_fma_f16 v41, v19, s6, v17
	s_movk_i32 s6, 0x39e0
	v_add_f16_e32 v37, v37, v27
	v_mul_f16_e32 v27, 0xbb00, v14
	v_mul_f16_e32 v29, 0xbb00, v15
	v_fma_f16 v18, v42, s6, -v33
	v_fma_f16 v19, v43, s6, -v38
	s_mov_b32 s6, 0xb9e0
	v_fma_f16 v14, v14, s5, -v39
	v_fma_f16 v15, v15, s5, -v35
	s_movk_i32 s5, 0x3574
	s_mov_b32 s4, 0xb70e
	v_fma_f16 v42, v42, s6, -v30
	v_fma_f16 v43, v43, s6, -v34
	;; [unrolled: 1-line block ×4, first 2 shown]
	v_add_f16_e32 v46, v18, v40
	v_add_f16_e32 v47, v19, v41
	;; [unrolled: 1-line block ×4, first 2 shown]
	v_fma_f16 v48, v36, s4, v14
	v_fma_f16 v14, v37, s4, v15
	;; [unrolled: 1-line block ×4, first 2 shown]
	v_sub_f16_e32 v18, v46, v14
	v_add_f16_e32 v19, v48, v47
	v_add_f16_e32 v14, v14, v46
	v_sub_f16_e32 v27, v47, v48
	v_sub_f16_e32 v15, v42, v45
	v_add_f16_e32 v29, v44, v43
	s_waitcnt lgkmcnt(0)
	; wave barrier
	s_and_saveexec_b64 s[4:5], vcc
	s_cbranch_execz .LBB0_21
; %bb.20:
	v_mul_f16_e32 v31, 0xb574, v31
	v_mul_f16_e32 v32, 0xb574, v32
	;; [unrolled: 1-line block ×4, first 2 shown]
	v_add_f16_e32 v31, v39, v31
	v_add_f16_e32 v34, v38, v34
	;; [unrolled: 1-line block ×9, first 2 shown]
	v_sub_f16_e32 v33, v30, v32
	v_sub_f16_e32 v31, v34, v31
	v_add_f16_e32 v30, v30, v32
	s_mov_b32 s6, 0x5040100
	v_sub_f16_e32 v35, v43, v44
	v_add_f16_e32 v37, v45, v42
	v_lshlrev_b32_e32 v23, 2, v23
	v_pack_b32_f16 v30, v30, v31
	v_perm_b32 v16, v17, v16, s6
	ds_write2_b32 v23, v16, v30 offset1:1
	v_perm_b32 v16, v19, v18, s6
	v_pack_b32_f16 v17, v37, v35
	ds_write2_b32 v23, v17, v16 offset0:2 offset1:3
	v_perm_b32 v16, v29, v15, s6
	v_perm_b32 v17, v27, v14, s6
	ds_write2_b32 v23, v17, v16 offset0:4 offset1:5
	v_pack_b32_f16 v16, v33, v36
	ds_write_b32 v23, v16 offset:24
.LBB0_21:
	s_or_b64 exec, exec, s[4:5]
	s_waitcnt lgkmcnt(0)
	; wave barrier
	s_waitcnt lgkmcnt(0)
	ds_read2_b32 v[16:17], v5 offset1:105
	ds_read_b32 v23, v5 offset:840
	s_and_saveexec_b64 s[4:5], s[0:1]
	s_cbranch_execz .LBB0_23
; %bb.22:
	v_add_u32_e32 v14, 0x200, v5
	ds_read_b32 v18, v5 offset:252
	ds_read2_b32 v[14:15], v14 offset0:40 offset1:145
	s_waitcnt lgkmcnt(1)
	v_lshrrev_b32_e32 v19, 16, v18
	s_waitcnt lgkmcnt(0)
	v_lshrrev_b32_e32 v27, 16, v14
	v_lshrrev_b32_e32 v29, 16, v15
.LBB0_23:
	s_or_b64 exec, exec, s[4:5]
	s_waitcnt lgkmcnt(1)
	v_lshrrev_b32_e32 v31, 16, v17
	v_mul_f16_sdwa v33, v8, v31 dst_sel:DWORD dst_unused:UNUSED_PAD src0_sel:WORD_1 src1_sel:DWORD
	s_waitcnt lgkmcnt(0)
	v_lshrrev_b32_e32 v32, 16, v23
	v_fma_f16 v33, v8, v17, v33
	v_mul_f16_sdwa v17, v8, v17 dst_sel:DWORD dst_unused:UNUSED_PAD src0_sel:WORD_1 src1_sel:DWORD
	v_fma_f16 v8, v8, v31, -v17
	v_mul_f16_sdwa v17, v9, v32 dst_sel:DWORD dst_unused:UNUSED_PAD src0_sel:WORD_1 src1_sel:DWORD
	v_fma_f16 v17, v9, v23, v17
	v_mul_f16_sdwa v23, v9, v23 dst_sel:DWORD dst_unused:UNUSED_PAD src0_sel:WORD_1 src1_sel:DWORD
	v_fma_f16 v9, v9, v32, -v23
	v_mul_f16_sdwa v23, v6, v27 dst_sel:DWORD dst_unused:UNUSED_PAD src0_sel:WORD_1 src1_sel:DWORD
	;; [unrolled: 4-line block ×3, first 2 shown]
	v_fma_f16 v31, v7, v15, v6
	v_mul_f16_sdwa v6, v7, v15 dst_sel:DWORD dst_unused:UNUSED_PAD src0_sel:WORD_1 src1_sel:DWORD
	v_fma_f16 v29, v7, v29, -v6
	v_add_f16_e32 v6, v16, v33
	v_add_f16_e32 v32, v6, v17
	;; [unrolled: 1-line block ×3, first 2 shown]
	v_lshrrev_b32_e32 v30, 16, v16
	v_fma_f16 v6, v6, -0.5, v16
	v_sub_f16_e32 v7, v8, v9
	s_mov_b32 s4, 0xbaee
	s_movk_i32 s5, 0x3aee
	v_fma_f16 v34, v7, s4, v6
	v_fma_f16 v35, v7, s5, v6
	v_add_f16_e32 v6, v30, v8
	v_add_f16_e32 v36, v6, v9
	v_add_f16_e32 v6, v8, v9
	v_fma_f16 v6, v6, -0.5, v30
	v_sub_f16_e32 v7, v33, v17
	v_fma_f16 v8, v7, s5, v6
	v_fma_f16 v9, v7, s4, v6
	v_add_f16_e32 v6, v18, v23
	v_add_f16_e32 v14, v31, v6
	;; [unrolled: 1-line block ×4, first 2 shown]
	v_fma_f16 v7, v6, -0.5, v18
	v_sub_f16_e32 v15, v27, v29
	v_fma_f16 v17, v16, -0.5, v19
	v_sub_f16_e32 v18, v23, v31
	v_fma_f16 v6, v15, s4, v7
	v_fma_f16 v7, v15, s5, v7
	v_add_f16_e32 v15, v19, v27
	v_fma_f16 v16, v18, s5, v17
	v_fma_f16 v17, v18, s4, v17
	v_pack_b32_f16 v18, v32, v36
	v_pack_b32_f16 v8, v34, v8
	v_add_f16_e32 v15, v29, v15
	s_waitcnt lgkmcnt(0)
	; wave barrier
	ds_write2_b32 v24, v18, v8 offset1:7
	v_pack_b32_f16 v8, v35, v9
	ds_write_b32 v24, v8 offset:56
	s_and_saveexec_b64 s[4:5], s[0:1]
	s_cbranch_execz .LBB0_25
; %bb.24:
	v_mul_u32_u24_e32 v8, 21, v21
	s_mov_b32 s6, 0x5040100
	v_add_lshl_u32 v8, v8, v22, 2
	v_perm_b32 v9, v15, v14, s6
	v_perm_b32 v18, v16, v6, s6
	ds_write2_b32 v8, v9, v18 offset1:7
	v_perm_b32 v9, v17, v7, s6
	ds_write_b32 v8, v9 offset:56
.LBB0_25:
	s_or_b64 exec, exec, s[4:5]
	s_waitcnt lgkmcnt(0)
	; wave barrier
	s_waitcnt lgkmcnt(0)
	ds_read2_b32 v[8:9], v5 offset1:105
	ds_read_b32 v18, v5 offset:840
	s_and_saveexec_b64 s[4:5], s[0:1]
	s_cbranch_execz .LBB0_27
; %bb.26:
	v_add_u32_e32 v6, 0x200, v5
	ds_read_b32 v14, v5 offset:252
	ds_read2_b32 v[6:7], v6 offset0:40 offset1:145
	s_waitcnt lgkmcnt(1)
	v_lshrrev_b32_e32 v15, 16, v14
	s_waitcnt lgkmcnt(0)
	v_lshrrev_b32_e32 v16, 16, v6
	v_lshrrev_b32_e32 v17, 16, v7
.LBB0_27:
	s_or_b64 exec, exec, s[4:5]
	s_waitcnt lgkmcnt(1)
	v_lshrrev_b32_e32 v21, 16, v9
	v_mul_f16_sdwa v23, v12, v21 dst_sel:DWORD dst_unused:UNUSED_PAD src0_sel:WORD_1 src1_sel:DWORD
	s_waitcnt lgkmcnt(0)
	v_lshrrev_b32_e32 v22, 16, v18
	v_fma_f16 v23, v12, v9, v23
	v_mul_f16_sdwa v9, v12, v9 dst_sel:DWORD dst_unused:UNUSED_PAD src0_sel:WORD_1 src1_sel:DWORD
	v_fma_f16 v9, v12, v21, -v9
	v_mul_f16_sdwa v12, v13, v22 dst_sel:DWORD dst_unused:UNUSED_PAD src0_sel:WORD_1 src1_sel:DWORD
	v_fma_f16 v12, v13, v18, v12
	v_mul_f16_sdwa v18, v13, v18 dst_sel:DWORD dst_unused:UNUSED_PAD src0_sel:WORD_1 src1_sel:DWORD
	v_fma_f16 v13, v13, v22, -v18
	v_add_f16_e32 v21, v23, v12
	v_lshrrev_b32_e32 v19, 16, v8
	v_add_f16_e32 v18, v8, v23
	v_fma_f16 v8, v21, -0.5, v8
	v_sub_f16_e32 v21, v9, v13
	s_mov_b32 s7, 0xbaee
	s_movk_i32 s6, 0x3aee
	v_fma_f16 v22, v21, s7, v8
	v_fma_f16 v8, v21, s6, v8
	v_add_f16_e32 v21, v19, v9
	v_add_f16_e32 v9, v9, v13
	;; [unrolled: 1-line block ×3, first 2 shown]
	v_fma_f16 v9, v9, -0.5, v19
	v_sub_f16_e32 v12, v23, v12
	v_add_f16_e32 v21, v21, v13
	v_fma_f16 v13, v12, s6, v9
	v_fma_f16 v9, v12, s7, v9
	v_pack_b32_f16 v12, v18, v21
	v_pack_b32_f16 v13, v22, v13
	;; [unrolled: 1-line block ×3, first 2 shown]
	s_waitcnt lgkmcnt(0)
	; wave barrier
	ds_write2_b32 v28, v12, v13 offset1:21
	ds_write_b32 v28, v8 offset:168
	s_and_saveexec_b64 s[4:5], s[0:1]
	s_cbranch_execz .LBB0_29
; %bb.28:
	v_mul_f16_sdwa v8, v10, v16 dst_sel:DWORD dst_unused:UNUSED_PAD src0_sel:WORD_1 src1_sel:DWORD
	v_mul_f16_sdwa v9, v11, v17 dst_sel:DWORD dst_unused:UNUSED_PAD src0_sel:WORD_1 src1_sel:DWORD
	v_fma_f16 v8, v10, v6, v8
	v_fma_f16 v9, v11, v7, v9
	v_mul_f16_sdwa v6, v10, v6 dst_sel:DWORD dst_unused:UNUSED_PAD src0_sel:WORD_1 src1_sel:DWORD
	v_mul_f16_sdwa v7, v11, v7 dst_sel:DWORD dst_unused:UNUSED_PAD src0_sel:WORD_1 src1_sel:DWORD
	v_fma_f16 v6, v10, v16, -v6
	v_fma_f16 v7, v11, v17, -v7
	v_sub_f16_e32 v12, v8, v9
	v_add_f16_e32 v10, v7, v6
	v_add_f16_e32 v13, v9, v8
	;; [unrolled: 1-line block ×3, first 2 shown]
	v_fma_f16 v10, v10, -0.5, v15
	v_fma_f16 v13, v13, -0.5, v14
	v_sub_f16_e32 v16, v6, v7
	v_add_f16_e32 v6, v15, v6
	v_add_f16_e32 v8, v9, v8
	v_mov_b32_e32 v9, 63
	v_fma_f16 v11, v12, s6, v10
	v_fma_f16 v17, v16, s7, v13
	v_add_f16_e32 v6, v7, v6
	v_mul_u32_u24_sdwa v9, v25, v9 dst_sel:DWORD dst_unused:UNUSED_PAD src0_sel:WORD_0 src1_sel:DWORD
	v_fma_f16 v10, v12, s7, v10
	v_fma_f16 v7, v16, s6, v13
	v_add_lshl_u32 v9, v9, v26, 2
	v_pack_b32_f16 v6, v8, v6
	v_pack_b32_f16 v8, v17, v11
	ds_write2_b32 v9, v6, v8 offset1:21
	v_pack_b32_f16 v6, v7, v10
	ds_write_b32 v9, v6 offset:168
.LBB0_29:
	s_or_b64 exec, exec, s[4:5]
	s_waitcnt lgkmcnt(0)
	; wave barrier
	s_waitcnt lgkmcnt(0)
	ds_read_b32 v10, v5
	ds_read2_b32 v[6:7], v5 offset0:63 offset1:126
	ds_read2_b32 v[8:9], v5 offset0:189 offset1:252
	s_mov_b32 s0, 0xbb9c
	s_movk_i32 s5, 0x3b9c
	s_mov_b32 s1, 0xb8b4
	s_waitcnt lgkmcnt(1)
	v_lshrrev_b32_e32 v12, 16, v6
	v_mul_f16_sdwa v16, v0, v12 dst_sel:DWORD dst_unused:UNUSED_PAD src0_sel:WORD_1 src1_sel:DWORD
	v_lshrrev_b32_e32 v13, 16, v7
	v_fma_f16 v16, v0, v6, v16
	v_mul_f16_sdwa v6, v0, v6 dst_sel:DWORD dst_unused:UNUSED_PAD src0_sel:WORD_1 src1_sel:DWORD
	v_fma_f16 v0, v0, v12, -v6
	v_mul_f16_sdwa v6, v1, v13 dst_sel:DWORD dst_unused:UNUSED_PAD src0_sel:WORD_1 src1_sel:DWORD
	s_waitcnt lgkmcnt(0)
	v_lshrrev_b32_e32 v14, 16, v8
	v_fma_f16 v6, v1, v7, v6
	v_mul_f16_sdwa v7, v1, v7 dst_sel:DWORD dst_unused:UNUSED_PAD src0_sel:WORD_1 src1_sel:DWORD
	v_fma_f16 v1, v1, v13, -v7
	v_mul_f16_sdwa v7, v2, v14 dst_sel:DWORD dst_unused:UNUSED_PAD src0_sel:WORD_1 src1_sel:DWORD
	v_lshrrev_b32_e32 v15, 16, v9
	v_fma_f16 v7, v2, v8, v7
	v_mul_f16_sdwa v8, v2, v8 dst_sel:DWORD dst_unused:UNUSED_PAD src0_sel:WORD_1 src1_sel:DWORD
	v_fma_f16 v2, v2, v14, -v8
	v_mul_f16_sdwa v8, v3, v15 dst_sel:DWORD dst_unused:UNUSED_PAD src0_sel:WORD_1 src1_sel:DWORD
	v_fma_f16 v8, v3, v9, v8
	v_mul_f16_sdwa v9, v3, v9 dst_sel:DWORD dst_unused:UNUSED_PAD src0_sel:WORD_1 src1_sel:DWORD
	v_fma_f16 v3, v3, v15, -v9
	v_add_f16_e32 v12, v6, v7
	v_fma_f16 v12, v12, -0.5, v10
	v_sub_f16_e32 v13, v0, v3
	v_fma_f16 v14, v13, s0, v12
	v_sub_f16_e32 v15, v1, v2
	v_sub_f16_e32 v17, v16, v6
	;; [unrolled: 1-line block ×3, first 2 shown]
	v_fma_f16 v12, v13, s5, v12
	s_movk_i32 s6, 0x38b4
	v_fma_f16 v14, v15, s1, v14
	v_add_f16_e32 v17, v17, v18
	s_movk_i32 s4, 0x34f2
	v_fma_f16 v12, v15, s6, v12
	v_add_f16_e32 v9, v10, v16
	v_fma_f16 v14, v17, s4, v14
	v_fma_f16 v12, v17, s4, v12
	v_add_f16_e32 v17, v16, v8
	v_lshrrev_b32_e32 v11, 16, v10
	v_add_f16_e32 v9, v9, v6
	v_fma_f16 v10, v17, -0.5, v10
	v_add_f16_e32 v9, v9, v7
	v_fma_f16 v17, v15, s5, v10
	v_fma_f16 v10, v15, s0, v10
	v_add_f16_e32 v15, v1, v2
	v_add_f16_e32 v9, v9, v8
	v_sub_f16_e32 v18, v6, v16
	v_sub_f16_e32 v19, v7, v8
	v_fma_f16 v15, v15, -0.5, v11
	v_sub_f16_e32 v8, v16, v8
	v_fma_f16 v17, v13, s1, v17
	v_add_f16_e32 v18, v18, v19
	v_fma_f16 v10, v13, s6, v10
	v_fma_f16 v16, v8, s5, v15
	v_sub_f16_e32 v6, v6, v7
	v_fma_f16 v17, v18, s4, v17
	v_fma_f16 v10, v18, s4, v10
	;; [unrolled: 1-line block ×3, first 2 shown]
	v_sub_f16_e32 v16, v0, v1
	v_sub_f16_e32 v18, v3, v2
	v_fma_f16 v15, v8, s0, v15
	v_add_f16_e32 v16, v16, v18
	v_fma_f16 v15, v6, s1, v15
	v_add_f16_e32 v13, v11, v0
	v_fma_f16 v7, v16, s4, v7
	v_fma_f16 v15, v16, s4, v15
	v_add_f16_e32 v16, v0, v3
	v_add_f16_e32 v13, v13, v1
	v_fma_f16 v11, v16, -0.5, v11
	v_add_f16_e32 v13, v13, v2
	v_fma_f16 v16, v6, s0, v11
	v_sub_f16_e32 v0, v1, v0
	v_sub_f16_e32 v1, v2, v3
	v_fma_f16 v2, v6, s5, v11
	v_add_f16_e32 v13, v13, v3
	v_fma_f16 v16, v8, s6, v16
	v_add_f16_e32 v0, v0, v1
	v_fma_f16 v2, v8, s1, v2
	v_fma_f16 v1, v0, s4, v16
	;; [unrolled: 1-line block ×3, first 2 shown]
	v_pack_b32_f16 v2, v9, v13
	ds_write_b32 v5, v2
	v_pack_b32_f16 v2, v14, v7
	v_pack_b32_f16 v1, v17, v1
	;; [unrolled: 1-line block ×3, first 2 shown]
	ds_write_b32 v5, v2 offset:252
	ds_write2_b32 v5, v1, v0 offset0:126 offset1:189
	v_pack_b32_f16 v0, v12, v15
	ds_write_b32 v5, v0 offset:1008
	s_waitcnt lgkmcnt(0)
	; wave barrier
	s_waitcnt lgkmcnt(0)
	s_and_b64 exec, exec, vcc
	s_cbranch_execz .LBB0_31
; %bb.30:
	global_load_dword v13, v5, s[2:3]
	ds_read_b32 v16, v5
	global_load_dword v9, v5, s[2:3] offset:180
	global_load_dword v10, v5, s[2:3] offset:360
	;; [unrolled: 1-line block ×6, first 2 shown]
	v_mad_u64_u32 v[2:3], s[0:1], s10, v4, 0
	v_mov_b32_e32 v18, v3
	s_waitcnt lgkmcnt(0)
	v_lshrrev_b32_e32 v3, 16, v16
	s_mov_b32 s6, 0x1a01a01a
	s_mov_b32 s7, 0x3f6a01a0
	s_movk_i32 s10, 0x1ff
	s_mov_b32 s14, 0x8000
	v_mov_b32_e32 v0, s12
	s_movk_i32 s12, 0xffe
	v_mad_u64_u32 v[6:7], s[0:1], s8, v20, 0
	v_mov_b32_e32 v8, 0x7c00
	v_mov_b32_e32 v1, s13
	s_movk_i32 s13, 0x40f
	s_waitcnt vmcnt(6)
	v_mul_f16_sdwa v19, v16, v13 dst_sel:DWORD dst_unused:UNUSED_PAD src0_sel:DWORD src1_sel:WORD_1
	v_mul_f16_sdwa v17, v3, v13 dst_sel:DWORD dst_unused:UNUSED_PAD src0_sel:DWORD src1_sel:WORD_1
	v_fma_f16 v3, v13, v3, -v19
	v_fma_f16 v16, v16, v13, v17
	v_cvt_f32_f16_e32 v19, v3
	v_cvt_f32_f16_e32 v13, v16
	v_mad_u64_u32 v[16:17], s[0:1], s11, v4, v[18:19]
	v_mov_b32_e32 v3, v16
	v_cvt_f64_f32_e32 v[16:17], v13
	v_cvt_f64_f32_e32 v[18:19], v19
	v_mul_f64 v[16:17], v[16:17], s[6:7]
	v_mul_f64 v[18:19], v[18:19], s[6:7]
	v_and_or_b32 v4, v17, s10, v16
	v_lshrrev_b32_e32 v13, 8, v17
	v_bfe_u32 v16, v17, 20, 11
	v_and_b32_sdwa v21, v17, s14 dst_sel:DWORD dst_unused:UNUSED_PAD src0_sel:WORD_1 src1_sel:DWORD
	v_and_or_b32 v17, v19, s10, v18
	v_cmp_ne_u32_e32 vcc, 0, v4
	v_lshrrev_b32_e32 v18, 8, v19
	v_bfe_u32 v22, v19, 20, 11
	v_cndmask_b32_e64 v4, 0, 1, vcc
	v_cmp_ne_u32_e32 vcc, 0, v17
	v_sub_u32_e32 v23, 0x3f1, v16
	v_and_or_b32 v4, v13, s12, v4
	v_cndmask_b32_e64 v17, 0, 1, vcc
	v_sub_u32_e32 v24, 0x3f1, v22
	v_med3_i32 v13, v23, 0, 13
	v_and_or_b32 v17, v18, s12, v17
	v_or_b32_e32 v23, 0x1000, v4
	v_add_u32_e32 v16, 0xfffffc10, v16
	v_med3_i32 v18, v24, 0, 13
	v_cmp_ne_u32_e32 vcc, 0, v4
	v_or_b32_e32 v25, 0x1000, v17
	v_lshrrev_b32_e32 v27, v13, v23
	v_add_u32_e32 v22, 0xfffffc10, v22
	v_lshl_or_b32 v24, v16, 12, v4
	v_cndmask_b32_e64 v4, 0, 1, vcc
	v_cmp_ne_u32_e32 vcc, 0, v17
	v_lshrrev_b32_e32 v28, v18, v25
	v_lshlrev_b32_e32 v13, v13, v27
	v_lshl_or_b32 v26, v22, 12, v17
	v_cndmask_b32_e64 v17, 0, 1, vcc
	v_lshlrev_b32_e32 v18, v18, v28
	v_cmp_ne_u32_e32 vcc, v13, v23
	v_lshl_or_b32 v4, v4, 9, v8
	v_lshl_or_b32 v17, v17, 9, v8
	v_cndmask_b32_e64 v13, 0, 1, vcc
	v_cmp_ne_u32_e32 vcc, v18, v25
	v_or_b32_e32 v13, v27, v13
	v_lshrrev_b32_e32 v19, 16, v19
	v_cndmask_b32_e64 v18, 0, 1, vcc
	v_cmp_gt_i32_e32 vcc, 1, v16
	v_or_b32_e32 v18, v28, v18
	v_lshl_add_u64 v[0:1], v[2:3], 2, v[0:1]
	v_cndmask_b32_e32 v13, v24, v13, vcc
	v_cmp_gt_i32_e32 vcc, 1, v22
	v_and_b32_e32 v23, 7, v13
	v_cmp_eq_u32_e64 s[0:1], 3, v23
	v_cndmask_b32_e32 v18, v26, v18, vcc
	v_cmp_lt_i32_e32 vcc, 5, v23
	v_lshrrev_b32_e32 v13, 2, v13
	v_and_b32_e32 v24, 7, v18
	s_or_b64 vcc, s[0:1], vcc
	v_cmp_lt_i32_e64 s[2:3], 5, v24
	v_cmp_eq_u32_e64 s[4:5], 3, v24
	v_addc_co_u32_e32 v13, vcc, 0, v13, vcc
	v_lshrrev_b32_e32 v18, 2, v18
	s_or_b64 vcc, s[4:5], s[2:3]
	v_addc_co_u32_e32 v18, vcc, 0, v18, vcc
	v_cmp_gt_i32_e32 vcc, 31, v16
	s_mov_b32 s2, 0xffff
	s_mul_i32 s3, s9, 0xb4
	v_cndmask_b32_e32 v13, v8, v13, vcc
	v_cmp_gt_i32_e32 vcc, 31, v22
	s_nop 1
	v_cndmask_b32_e32 v18, v8, v18, vcc
	v_cmp_eq_u32_e32 vcc, s13, v16
	s_nop 1
	v_cndmask_b32_e32 v13, v13, v4, vcc
	v_cmp_eq_u32_e32 vcc, s13, v22
	s_nop 1
	v_cndmask_b32_e32 v4, v18, v17, vcc
	v_and_or_b32 v22, v19, s14, v4
	ds_read2_b32 v[18:19], v5 offset0:45 offset1:90
	v_mov_b32_e32 v4, v7
	v_mad_u64_u32 v[16:17], s[0:1], s9, v20, v[4:5]
	v_bitop3_b32 v4, v21, s2, v13 bitop3:0xc8
	s_waitcnt lgkmcnt(0)
	v_lshrrev_b32_e32 v13, 16, v18
	v_mov_b32_e32 v7, v16
	s_waitcnt vmcnt(5)
	v_mul_f16_sdwa v16, v13, v9 dst_sel:DWORD dst_unused:UNUSED_PAD src0_sel:DWORD src1_sel:WORD_1
	v_fma_f16 v16, v18, v9, v16
	v_cvt_f32_f16_e32 v16, v16
	v_lshl_or_b32 v4, v22, 16, v4
	v_lshl_add_u64 v[0:1], v[6:7], 2, v[0:1]
	global_store_dword v[0:1], v4, off
	v_cvt_f64_f32_e32 v[2:3], v16
	v_mul_f64 v[2:3], v[2:3], s[6:7]
	v_and_or_b32 v2, v3, s10, v2
	v_cmp_ne_u32_e32 vcc, 0, v2
	v_lshrrev_b32_e32 v4, 8, v3
	v_bfe_u32 v6, v3, 20, 11
	v_cndmask_b32_e64 v2, 0, 1, vcc
	v_and_or_b32 v2, v4, s12, v2
	v_sub_u32_e32 v7, 0x3f1, v6
	v_or_b32_e32 v4, 0x1000, v2
	v_med3_i32 v7, v7, 0, 13
	v_lshrrev_b32_e32 v16, v7, v4
	v_lshlrev_b32_e32 v7, v7, v16
	v_cmp_ne_u32_e32 vcc, v7, v4
	v_add_u32_e32 v6, 0xfffffc10, v6
	v_lshl_or_b32 v7, v6, 12, v2
	v_cndmask_b32_e64 v4, 0, 1, vcc
	v_or_b32_e32 v4, v16, v4
	v_cmp_gt_i32_e32 vcc, 1, v6
	s_nop 1
	v_cndmask_b32_e32 v4, v7, v4, vcc
	v_and_b32_e32 v7, 7, v4
	v_cmp_lt_i32_e32 vcc, 5, v7
	v_cmp_eq_u32_e64 s[0:1], 3, v7
	v_lshrrev_b32_e32 v4, 2, v4
	s_or_b64 vcc, s[0:1], vcc
	v_mul_f16_sdwa v7, v18, v9 dst_sel:DWORD dst_unused:UNUSED_PAD src0_sel:DWORD src1_sel:WORD_1
	v_addc_co_u32_e32 v4, vcc, 0, v4, vcc
	v_fma_f16 v7, v9, v13, -v7
	v_cmp_gt_i32_e32 vcc, 31, v6
	v_cvt_f32_f16_e32 v7, v7
	s_nop 0
	v_cndmask_b32_e32 v4, v8, v4, vcc
	v_cmp_ne_u32_e32 vcc, 0, v2
	s_nop 1
	v_cndmask_b32_e64 v2, 0, 1, vcc
	v_lshl_or_b32 v2, v2, 9, v8
	v_cmp_eq_u32_e32 vcc, s13, v6
	v_and_b32_sdwa v6, v3, s14 dst_sel:DWORD dst_unused:UNUSED_PAD src0_sel:WORD_1 src1_sel:DWORD
	s_nop 0
	v_cndmask_b32_e32 v4, v4, v2, vcc
	v_cvt_f64_f32_e32 v[2:3], v7
	v_mul_f64 v[2:3], v[2:3], s[6:7]
	v_and_or_b32 v2, v3, s10, v2
	v_cmp_ne_u32_e32 vcc, 0, v2
	v_lshrrev_b32_e32 v7, 8, v3
	v_bfe_u32 v9, v3, 20, 11
	v_cndmask_b32_e64 v2, 0, 1, vcc
	v_and_or_b32 v2, v7, s12, v2
	v_sub_u32_e32 v13, 0x3f1, v9
	v_or_b32_e32 v7, 0x1000, v2
	v_med3_i32 v13, v13, 0, 13
	v_lshrrev_b32_e32 v16, v13, v7
	v_lshlrev_b32_e32 v13, v13, v16
	v_cmp_ne_u32_e32 vcc, v13, v7
	v_add_u32_e32 v9, 0xfffffc10, v9
	v_lshl_or_b32 v13, v9, 12, v2
	v_cndmask_b32_e64 v7, 0, 1, vcc
	v_or_b32_e32 v7, v16, v7
	v_cmp_gt_i32_e32 vcc, 1, v9
	v_lshrrev_b32_e32 v3, 16, v3
	s_nop 0
	v_cndmask_b32_e32 v7, v13, v7, vcc
	v_and_b32_e32 v13, 7, v7
	v_cmp_lt_i32_e32 vcc, 5, v13
	v_cmp_eq_u32_e64 s[0:1], 3, v13
	v_lshrrev_b32_e32 v7, 2, v7
	s_or_b64 vcc, s[0:1], vcc
	v_addc_co_u32_e32 v7, vcc, 0, v7, vcc
	v_cmp_gt_i32_e32 vcc, 31, v9
	s_nop 1
	v_cndmask_b32_e32 v7, v8, v7, vcc
	v_cmp_ne_u32_e32 vcc, 0, v2
	s_nop 1
	v_cndmask_b32_e64 v2, 0, 1, vcc
	v_lshl_or_b32 v2, v2, 9, v8
	v_cmp_eq_u32_e32 vcc, s13, v9
	v_mov_b32_e32 v9, 0xb4
	v_mad_u64_u32 v[0:1], s[0:1], s8, v9, v[0:1]
	v_cndmask_b32_e32 v2, v7, v2, vcc
	v_and_or_b32 v2, v3, s14, v2
	v_bitop3_b32 v3, v6, s2, v4 bitop3:0xc8
	v_lshrrev_b32_e32 v4, 16, v19
	v_lshl_or_b32 v2, v2, 16, v3
	s_waitcnt vmcnt(5)
	v_mul_f16_sdwa v3, v4, v10 dst_sel:DWORD dst_unused:UNUSED_PAD src0_sel:DWORD src1_sel:WORD_1
	v_fma_f16 v3, v19, v10, v3
	v_cvt_f32_f16_e32 v3, v3
	v_add_u32_e32 v1, s3, v1
	global_store_dword v[0:1], v2, off
	v_cvt_f64_f32_e32 v[2:3], v3
	v_mul_f64 v[2:3], v[2:3], s[6:7]
	v_and_or_b32 v2, v3, s10, v2
	v_cmp_ne_u32_e32 vcc, 0, v2
	v_lshrrev_b32_e32 v6, 8, v3
	v_bfe_u32 v7, v3, 20, 11
	v_cndmask_b32_e64 v2, 0, 1, vcc
	v_and_or_b32 v2, v6, s12, v2
	v_sub_u32_e32 v13, 0x3f1, v7
	v_or_b32_e32 v6, 0x1000, v2
	v_med3_i32 v13, v13, 0, 13
	v_lshrrev_b32_e32 v16, v13, v6
	v_lshlrev_b32_e32 v13, v13, v16
	v_cmp_ne_u32_e32 vcc, v13, v6
	v_add_u32_e32 v7, 0xfffffc10, v7
	v_lshl_or_b32 v13, v7, 12, v2
	v_cndmask_b32_e64 v6, 0, 1, vcc
	v_or_b32_e32 v6, v16, v6
	v_cmp_gt_i32_e32 vcc, 1, v7
	s_nop 1
	v_cndmask_b32_e32 v6, v13, v6, vcc
	v_and_b32_e32 v13, 7, v6
	v_cmp_lt_i32_e32 vcc, 5, v13
	v_cmp_eq_u32_e64 s[0:1], 3, v13
	v_lshrrev_b32_e32 v6, 2, v6
	s_or_b64 vcc, s[0:1], vcc
	v_mul_f16_sdwa v13, v19, v10 dst_sel:DWORD dst_unused:UNUSED_PAD src0_sel:DWORD src1_sel:WORD_1
	v_addc_co_u32_e32 v6, vcc, 0, v6, vcc
	v_fma_f16 v4, v10, v4, -v13
	v_cmp_gt_i32_e32 vcc, 31, v7
	v_cvt_f32_f16_e32 v4, v4
	v_and_b32_sdwa v13, v3, s14 dst_sel:DWORD dst_unused:UNUSED_PAD src0_sel:WORD_1 src1_sel:DWORD
	v_cndmask_b32_e32 v6, v8, v6, vcc
	v_cmp_ne_u32_e32 vcc, 0, v2
	s_nop 1
	v_cndmask_b32_e64 v2, 0, 1, vcc
	v_lshl_or_b32 v2, v2, 9, v8
	v_cmp_eq_u32_e32 vcc, s13, v7
	s_nop 1
	v_cndmask_b32_e32 v10, v6, v2, vcc
	v_cvt_f64_f32_e32 v[2:3], v4
	v_mul_f64 v[2:3], v[2:3], s[6:7]
	v_and_or_b32 v2, v3, s10, v2
	v_cmp_ne_u32_e32 vcc, 0, v2
	v_lshrrev_b32_e32 v4, 8, v3
	v_bfe_u32 v6, v3, 20, 11
	v_cndmask_b32_e64 v2, 0, 1, vcc
	v_and_or_b32 v2, v4, s12, v2
	v_sub_u32_e32 v7, 0x3f1, v6
	v_or_b32_e32 v4, 0x1000, v2
	v_med3_i32 v7, v7, 0, 13
	v_lshrrev_b32_e32 v16, v7, v4
	v_lshlrev_b32_e32 v7, v7, v16
	v_cmp_ne_u32_e32 vcc, v7, v4
	v_add_u32_e32 v6, 0xfffffc10, v6
	v_lshl_or_b32 v7, v6, 12, v2
	v_cndmask_b32_e64 v4, 0, 1, vcc
	v_or_b32_e32 v4, v16, v4
	v_cmp_gt_i32_e32 vcc, 1, v6
	v_lshrrev_b32_e32 v3, 16, v3
	s_nop 0
	v_cndmask_b32_e32 v4, v7, v4, vcc
	v_and_b32_e32 v7, 7, v4
	v_cmp_lt_i32_e32 vcc, 5, v7
	v_cmp_eq_u32_e64 s[0:1], 3, v7
	v_lshrrev_b32_e32 v4, 2, v4
	s_or_b64 vcc, s[0:1], vcc
	v_addc_co_u32_e32 v4, vcc, 0, v4, vcc
	v_cmp_gt_i32_e32 vcc, 31, v6
	v_mad_u64_u32 v[0:1], s[0:1], s8, v9, v[0:1]
	s_nop 0
	v_cndmask_b32_e32 v4, v8, v4, vcc
	v_cmp_ne_u32_e32 vcc, 0, v2
	v_add_u32_e32 v1, s3, v1
	s_nop 0
	v_cndmask_b32_e64 v2, 0, 1, vcc
	v_cmp_eq_u32_e32 vcc, s13, v6
	ds_read2_b32 v[6:7], v5 offset0:135 offset1:180
	v_lshl_or_b32 v2, v2, 9, v8
	v_cndmask_b32_e32 v2, v4, v2, vcc
	v_and_or_b32 v2, v3, s14, v2
	v_bitop3_b32 v3, v13, s2, v10 bitop3:0xc8
	s_waitcnt lgkmcnt(0)
	v_lshrrev_b32_e32 v4, 16, v6
	v_lshl_or_b32 v2, v2, 16, v3
	s_waitcnt vmcnt(5)
	v_mul_f16_sdwa v3, v4, v11 dst_sel:DWORD dst_unused:UNUSED_PAD src0_sel:DWORD src1_sel:WORD_1
	v_fma_f16 v3, v6, v11, v3
	v_cvt_f32_f16_e32 v3, v3
	global_store_dword v[0:1], v2, off
	v_mul_f16_sdwa v6, v6, v11 dst_sel:DWORD dst_unused:UNUSED_PAD src0_sel:DWORD src1_sel:WORD_1
	v_fma_f16 v4, v11, v4, -v6
	v_cvt_f64_f32_e32 v[2:3], v3
	v_mul_f64 v[2:3], v[2:3], s[6:7]
	v_and_or_b32 v2, v3, s10, v2
	v_cmp_ne_u32_e32 vcc, 0, v2
	v_lshrrev_b32_e32 v10, 8, v3
	v_bfe_u32 v13, v3, 20, 11
	v_cndmask_b32_e64 v2, 0, 1, vcc
	v_and_or_b32 v2, v10, s12, v2
	v_sub_u32_e32 v16, 0x3f1, v13
	v_or_b32_e32 v10, 0x1000, v2
	v_med3_i32 v16, v16, 0, 13
	v_lshrrev_b32_e32 v17, v16, v10
	v_lshlrev_b32_e32 v16, v16, v17
	v_cmp_ne_u32_e32 vcc, v16, v10
	v_add_u32_e32 v13, 0xfffffc10, v13
	v_lshl_or_b32 v16, v13, 12, v2
	v_cndmask_b32_e64 v10, 0, 1, vcc
	v_or_b32_e32 v10, v17, v10
	v_cmp_gt_i32_e32 vcc, 1, v13
	v_cvt_f32_f16_e32 v4, v4
	s_nop 0
	v_cndmask_b32_e32 v10, v16, v10, vcc
	v_and_b32_e32 v16, 7, v10
	v_cmp_lt_i32_e32 vcc, 5, v16
	v_cmp_eq_u32_e64 s[0:1], 3, v16
	v_lshrrev_b32_e32 v10, 2, v10
	s_or_b64 vcc, s[0:1], vcc
	v_addc_co_u32_e32 v10, vcc, 0, v10, vcc
	v_cmp_gt_i32_e32 vcc, 31, v13
	s_nop 1
	v_cndmask_b32_e32 v10, v8, v10, vcc
	v_cmp_ne_u32_e32 vcc, 0, v2
	s_nop 1
	v_cndmask_b32_e64 v2, 0, 1, vcc
	v_lshl_or_b32 v2, v2, 9, v8
	v_cmp_eq_u32_e32 vcc, s13, v13
	s_nop 1
	v_cndmask_b32_e32 v6, v10, v2, vcc
	v_and_b32_sdwa v10, v3, s14 dst_sel:DWORD dst_unused:UNUSED_PAD src0_sel:WORD_1 src1_sel:DWORD
	v_cvt_f64_f32_e32 v[2:3], v4
	v_mul_f64 v[2:3], v[2:3], s[6:7]
	v_and_or_b32 v2, v3, s10, v2
	v_cmp_ne_u32_e32 vcc, 0, v2
	v_lshrrev_b32_e32 v4, 8, v3
	v_bfe_u32 v11, v3, 20, 11
	v_cndmask_b32_e64 v2, 0, 1, vcc
	v_and_or_b32 v2, v4, s12, v2
	v_sub_u32_e32 v13, 0x3f1, v11
	v_or_b32_e32 v4, 0x1000, v2
	v_med3_i32 v13, v13, 0, 13
	v_lshrrev_b32_e32 v16, v13, v4
	v_lshlrev_b32_e32 v13, v13, v16
	v_cmp_ne_u32_e32 vcc, v13, v4
	v_add_u32_e32 v11, 0xfffffc10, v11
	v_lshl_or_b32 v13, v11, 12, v2
	v_cndmask_b32_e64 v4, 0, 1, vcc
	v_or_b32_e32 v4, v16, v4
	v_cmp_gt_i32_e32 vcc, 1, v11
	v_lshrrev_b32_e32 v3, 16, v3
	s_nop 0
	v_cndmask_b32_e32 v4, v13, v4, vcc
	v_and_b32_e32 v13, 7, v4
	v_cmp_lt_i32_e32 vcc, 5, v13
	v_cmp_eq_u32_e64 s[0:1], 3, v13
	v_lshrrev_b32_e32 v4, 2, v4
	s_or_b64 vcc, s[0:1], vcc
	v_addc_co_u32_e32 v4, vcc, 0, v4, vcc
	v_cmp_gt_i32_e32 vcc, 31, v11
	v_mad_u64_u32 v[0:1], s[0:1], s8, v9, v[0:1]
	s_nop 0
	v_cndmask_b32_e32 v4, v8, v4, vcc
	v_cmp_ne_u32_e32 vcc, 0, v2
	v_add_u32_e32 v1, s3, v1
	s_nop 0
	v_cndmask_b32_e64 v2, 0, 1, vcc
	v_lshl_or_b32 v2, v2, 9, v8
	v_cmp_eq_u32_e32 vcc, s13, v11
	s_nop 1
	v_cndmask_b32_e32 v2, v4, v2, vcc
	v_and_or_b32 v2, v3, s14, v2
	v_bitop3_b32 v3, v10, s2, v6 bitop3:0xc8
	v_lshrrev_b32_e32 v4, 16, v7
	v_lshl_or_b32 v2, v2, 16, v3
	s_waitcnt vmcnt(5)
	v_mul_f16_sdwa v3, v4, v12 dst_sel:DWORD dst_unused:UNUSED_PAD src0_sel:DWORD src1_sel:WORD_1
	v_fma_f16 v3, v7, v12, v3
	v_cvt_f32_f16_e32 v3, v3
	global_store_dword v[0:1], v2, off
	v_mul_f16_sdwa v7, v7, v12 dst_sel:DWORD dst_unused:UNUSED_PAD src0_sel:DWORD src1_sel:WORD_1
	v_fma_f16 v4, v12, v4, -v7
	v_cvt_f64_f32_e32 v[2:3], v3
	v_mul_f64 v[2:3], v[2:3], s[6:7]
	v_and_or_b32 v2, v3, s10, v2
	v_cmp_ne_u32_e32 vcc, 0, v2
	v_lshrrev_b32_e32 v6, 8, v3
	v_bfe_u32 v10, v3, 20, 11
	v_cndmask_b32_e64 v2, 0, 1, vcc
	v_and_or_b32 v2, v6, s12, v2
	v_sub_u32_e32 v11, 0x3f1, v10
	v_or_b32_e32 v6, 0x1000, v2
	v_med3_i32 v11, v11, 0, 13
	v_lshrrev_b32_e32 v13, v11, v6
	v_lshlrev_b32_e32 v11, v11, v13
	v_cmp_ne_u32_e32 vcc, v11, v6
	v_add_u32_e32 v10, 0xfffffc10, v10
	v_lshl_or_b32 v11, v10, 12, v2
	v_cndmask_b32_e64 v6, 0, 1, vcc
	v_or_b32_e32 v6, v13, v6
	v_cmp_gt_i32_e32 vcc, 1, v10
	v_cvt_f32_f16_e32 v4, v4
	v_and_b32_sdwa v7, v3, s14 dst_sel:DWORD dst_unused:UNUSED_PAD src0_sel:WORD_1 src1_sel:DWORD
	v_cndmask_b32_e32 v6, v11, v6, vcc
	v_and_b32_e32 v11, 7, v6
	v_cmp_lt_i32_e32 vcc, 5, v11
	v_cmp_eq_u32_e64 s[0:1], 3, v11
	v_lshrrev_b32_e32 v6, 2, v6
	s_or_b64 vcc, s[0:1], vcc
	v_addc_co_u32_e32 v6, vcc, 0, v6, vcc
	v_cmp_gt_i32_e32 vcc, 31, v10
	s_nop 1
	v_cndmask_b32_e32 v6, v8, v6, vcc
	v_cmp_ne_u32_e32 vcc, 0, v2
	s_nop 1
	v_cndmask_b32_e64 v2, 0, 1, vcc
	v_lshl_or_b32 v2, v2, 9, v8
	v_cmp_eq_u32_e32 vcc, s13, v10
	s_nop 1
	v_cndmask_b32_e32 v6, v6, v2, vcc
	v_cvt_f64_f32_e32 v[2:3], v4
	v_mul_f64 v[2:3], v[2:3], s[6:7]
	v_and_or_b32 v2, v3, s10, v2
	v_cmp_ne_u32_e32 vcc, 0, v2
	v_lshrrev_b32_e32 v4, 8, v3
	v_bfe_u32 v10, v3, 20, 11
	v_cndmask_b32_e64 v2, 0, 1, vcc
	v_and_or_b32 v2, v4, s12, v2
	v_sub_u32_e32 v11, 0x3f1, v10
	v_or_b32_e32 v4, 0x1000, v2
	v_med3_i32 v11, v11, 0, 13
	v_lshrrev_b32_e32 v12, v11, v4
	v_lshlrev_b32_e32 v11, v11, v12
	v_cmp_ne_u32_e32 vcc, v11, v4
	v_add_u32_e32 v10, 0xfffffc10, v10
	v_lshl_or_b32 v11, v10, 12, v2
	v_cndmask_b32_e64 v4, 0, 1, vcc
	v_or_b32_e32 v4, v12, v4
	v_cmp_gt_i32_e32 vcc, 1, v10
	v_lshrrev_b32_e32 v3, 16, v3
	s_nop 0
	v_cndmask_b32_e32 v4, v11, v4, vcc
	v_and_b32_e32 v11, 7, v4
	v_cmp_lt_i32_e32 vcc, 5, v11
	v_cmp_eq_u32_e64 s[0:1], 3, v11
	v_lshrrev_b32_e32 v4, 2, v4
	s_or_b64 vcc, s[0:1], vcc
	v_addc_co_u32_e32 v4, vcc, 0, v4, vcc
	v_cmp_gt_i32_e32 vcc, 31, v10
	v_mad_u64_u32 v[0:1], s[0:1], s8, v9, v[0:1]
	s_nop 0
	v_cndmask_b32_e32 v4, v8, v4, vcc
	v_cmp_ne_u32_e32 vcc, 0, v2
	v_add_u32_e32 v1, s3, v1
	s_nop 0
	v_cndmask_b32_e64 v2, 0, 1, vcc
	v_lshl_or_b32 v2, v2, 9, v8
	v_cmp_eq_u32_e32 vcc, s13, v10
	s_nop 1
	v_cndmask_b32_e32 v2, v4, v2, vcc
	v_add_u32_e32 v4, 0x200, v5
	ds_read2_b32 v[4:5], v4 offset0:97 offset1:142
	v_and_or_b32 v2, v3, s14, v2
	v_bitop3_b32 v3, v7, s2, v6 bitop3:0xc8
	v_lshl_or_b32 v2, v2, 16, v3
	global_store_dword v[0:1], v2, off
	s_waitcnt lgkmcnt(0)
	v_lshrrev_b32_e32 v6, 16, v4
	s_waitcnt vmcnt(6)
	v_mul_f16_sdwa v3, v6, v15 dst_sel:DWORD dst_unused:UNUSED_PAD src0_sel:DWORD src1_sel:WORD_1
	v_fma_f16 v3, v4, v15, v3
	v_cvt_f32_f16_e32 v3, v3
	v_mul_f16_sdwa v4, v4, v15 dst_sel:DWORD dst_unused:UNUSED_PAD src0_sel:DWORD src1_sel:WORD_1
	v_fma_f16 v4, v15, v6, -v4
	v_cvt_f32_f16_e32 v4, v4
	v_cvt_f64_f32_e32 v[2:3], v3
	v_mul_f64 v[2:3], v[2:3], s[6:7]
	v_and_or_b32 v2, v3, s10, v2
	v_cmp_ne_u32_e32 vcc, 0, v2
	v_lshrrev_b32_e32 v7, 8, v3
	v_bfe_u32 v10, v3, 20, 11
	v_cndmask_b32_e64 v2, 0, 1, vcc
	v_and_or_b32 v2, v7, s12, v2
	v_sub_u32_e32 v11, 0x3f1, v10
	v_or_b32_e32 v7, 0x1000, v2
	v_med3_i32 v11, v11, 0, 13
	v_lshrrev_b32_e32 v12, v11, v7
	v_lshlrev_b32_e32 v11, v11, v12
	v_cmp_ne_u32_e32 vcc, v11, v7
	v_add_u32_e32 v10, 0xfffffc10, v10
	v_lshl_or_b32 v11, v10, 12, v2
	v_cndmask_b32_e64 v7, 0, 1, vcc
	v_or_b32_e32 v7, v12, v7
	v_cmp_gt_i32_e32 vcc, 1, v10
	s_nop 1
	v_cndmask_b32_e32 v7, v11, v7, vcc
	v_and_b32_e32 v11, 7, v7
	v_cmp_lt_i32_e32 vcc, 5, v11
	v_cmp_eq_u32_e64 s[0:1], 3, v11
	v_lshrrev_b32_e32 v7, 2, v7
	s_or_b64 vcc, s[0:1], vcc
	v_addc_co_u32_e32 v7, vcc, 0, v7, vcc
	v_cmp_gt_i32_e32 vcc, 31, v10
	s_nop 1
	v_cndmask_b32_e32 v7, v8, v7, vcc
	v_cmp_ne_u32_e32 vcc, 0, v2
	s_nop 1
	v_cndmask_b32_e64 v2, 0, 1, vcc
	v_lshl_or_b32 v2, v2, 9, v8
	v_cmp_eq_u32_e32 vcc, s13, v10
	s_nop 1
	v_cndmask_b32_e32 v6, v7, v2, vcc
	v_and_b32_sdwa v7, v3, s14 dst_sel:DWORD dst_unused:UNUSED_PAD src0_sel:WORD_1 src1_sel:DWORD
	v_cvt_f64_f32_e32 v[2:3], v4
	v_mul_f64 v[2:3], v[2:3], s[6:7]
	v_and_or_b32 v2, v3, s10, v2
	v_cmp_ne_u32_e32 vcc, 0, v2
	v_lshrrev_b32_e32 v4, 8, v3
	v_bfe_u32 v10, v3, 20, 11
	v_cndmask_b32_e64 v2, 0, 1, vcc
	v_and_or_b32 v2, v4, s12, v2
	v_sub_u32_e32 v11, 0x3f1, v10
	v_or_b32_e32 v4, 0x1000, v2
	v_med3_i32 v11, v11, 0, 13
	v_lshrrev_b32_e32 v12, v11, v4
	v_lshlrev_b32_e32 v11, v11, v12
	v_cmp_ne_u32_e32 vcc, v11, v4
	v_add_u32_e32 v10, 0xfffffc10, v10
	v_lshl_or_b32 v11, v10, 12, v2
	v_cndmask_b32_e64 v4, 0, 1, vcc
	v_or_b32_e32 v4, v12, v4
	v_cmp_gt_i32_e32 vcc, 1, v10
	v_lshrrev_b32_e32 v3, 16, v3
	s_nop 0
	v_cndmask_b32_e32 v4, v11, v4, vcc
	v_and_b32_e32 v11, 7, v4
	v_cmp_lt_i32_e32 vcc, 5, v11
	v_cmp_eq_u32_e64 s[0:1], 3, v11
	v_lshrrev_b32_e32 v4, 2, v4
	s_or_b64 vcc, s[0:1], vcc
	v_addc_co_u32_e32 v4, vcc, 0, v4, vcc
	v_cmp_gt_i32_e32 vcc, 31, v10
	v_mad_u64_u32 v[0:1], s[0:1], s8, v9, v[0:1]
	s_nop 0
	v_cndmask_b32_e32 v4, v8, v4, vcc
	v_cmp_ne_u32_e32 vcc, 0, v2
	v_add_u32_e32 v1, s3, v1
	s_nop 0
	v_cndmask_b32_e64 v2, 0, 1, vcc
	v_lshl_or_b32 v2, v2, 9, v8
	v_cmp_eq_u32_e32 vcc, s13, v10
	s_nop 1
	v_cndmask_b32_e32 v2, v4, v2, vcc
	v_and_or_b32 v2, v3, s14, v2
	v_bitop3_b32 v3, v7, s2, v6 bitop3:0xc8
	v_lshrrev_b32_e32 v4, 16, v5
	v_lshl_or_b32 v2, v2, 16, v3
	s_waitcnt vmcnt(5)
	v_mul_f16_sdwa v3, v4, v14 dst_sel:DWORD dst_unused:UNUSED_PAD src0_sel:DWORD src1_sel:WORD_1
	v_fma_f16 v3, v5, v14, v3
	v_cvt_f32_f16_e32 v3, v3
	global_store_dword v[0:1], v2, off
	v_mul_f16_sdwa v5, v5, v14 dst_sel:DWORD dst_unused:UNUSED_PAD src0_sel:DWORD src1_sel:WORD_1
	v_fma_f16 v4, v14, v4, -v5
	v_cvt_f64_f32_e32 v[2:3], v3
	v_mul_f64 v[2:3], v[2:3], s[6:7]
	v_and_or_b32 v2, v3, s10, v2
	v_cmp_ne_u32_e32 vcc, 0, v2
	v_lshrrev_b32_e32 v6, 8, v3
	v_bfe_u32 v7, v3, 20, 11
	v_cndmask_b32_e64 v2, 0, 1, vcc
	v_and_or_b32 v2, v6, s12, v2
	v_sub_u32_e32 v10, 0x3f1, v7
	v_or_b32_e32 v6, 0x1000, v2
	v_med3_i32 v10, v10, 0, 13
	v_lshrrev_b32_e32 v11, v10, v6
	v_lshlrev_b32_e32 v10, v10, v11
	v_cmp_ne_u32_e32 vcc, v10, v6
	v_add_u32_e32 v7, 0xfffffc10, v7
	v_lshl_or_b32 v10, v7, 12, v2
	v_cndmask_b32_e64 v6, 0, 1, vcc
	v_or_b32_e32 v6, v11, v6
	v_cmp_gt_i32_e32 vcc, 1, v7
	v_cvt_f32_f16_e32 v4, v4
	s_nop 0
	v_cndmask_b32_e32 v6, v10, v6, vcc
	v_and_b32_e32 v10, 7, v6
	v_cmp_lt_i32_e32 vcc, 5, v10
	v_cmp_eq_u32_e64 s[0:1], 3, v10
	v_lshrrev_b32_e32 v6, 2, v6
	s_or_b64 vcc, s[0:1], vcc
	v_addc_co_u32_e32 v6, vcc, 0, v6, vcc
	v_cmp_gt_i32_e32 vcc, 31, v7
	s_nop 1
	v_cndmask_b32_e32 v6, v8, v6, vcc
	v_cmp_ne_u32_e32 vcc, 0, v2
	s_nop 1
	v_cndmask_b32_e64 v2, 0, 1, vcc
	v_lshl_or_b32 v2, v2, 9, v8
	v_cmp_eq_u32_e32 vcc, s13, v7
	s_nop 1
	v_cndmask_b32_e32 v5, v6, v2, vcc
	v_and_b32_sdwa v6, v3, s14 dst_sel:DWORD dst_unused:UNUSED_PAD src0_sel:WORD_1 src1_sel:DWORD
	v_cvt_f64_f32_e32 v[2:3], v4
	v_mul_f64 v[2:3], v[2:3], s[6:7]
	v_and_or_b32 v2, v3, s10, v2
	v_cmp_ne_u32_e32 vcc, 0, v2
	v_lshrrev_b32_e32 v4, 8, v3
	v_bfe_u32 v7, v3, 20, 11
	v_cndmask_b32_e64 v2, 0, 1, vcc
	v_and_or_b32 v2, v4, s12, v2
	v_sub_u32_e32 v10, 0x3f1, v7
	v_or_b32_e32 v4, 0x1000, v2
	v_med3_i32 v10, v10, 0, 13
	v_lshrrev_b32_e32 v11, v10, v4
	v_lshlrev_b32_e32 v10, v10, v11
	v_cmp_ne_u32_e32 vcc, v10, v4
	v_add_u32_e32 v7, 0xfffffc10, v7
	v_lshl_or_b32 v10, v7, 12, v2
	v_cndmask_b32_e64 v4, 0, 1, vcc
	v_or_b32_e32 v4, v11, v4
	v_cmp_gt_i32_e32 vcc, 1, v7
	v_lshrrev_b32_e32 v3, 16, v3
	s_nop 0
	v_cndmask_b32_e32 v4, v10, v4, vcc
	v_and_b32_e32 v10, 7, v4
	v_cmp_lt_i32_e32 vcc, 5, v10
	v_cmp_eq_u32_e64 s[0:1], 3, v10
	v_lshrrev_b32_e32 v4, 2, v4
	s_or_b64 vcc, s[0:1], vcc
	v_addc_co_u32_e32 v4, vcc, 0, v4, vcc
	v_cmp_gt_i32_e32 vcc, 31, v7
	v_mad_u64_u32 v[0:1], s[0:1], s8, v9, v[0:1]
	s_nop 0
	v_cndmask_b32_e32 v4, v8, v4, vcc
	v_cmp_ne_u32_e32 vcc, 0, v2
	v_add_u32_e32 v1, s3, v1
	s_nop 0
	v_cndmask_b32_e64 v2, 0, 1, vcc
	v_lshl_or_b32 v2, v2, 9, v8
	v_cmp_eq_u32_e32 vcc, s13, v7
	s_nop 1
	v_cndmask_b32_e32 v2, v4, v2, vcc
	v_and_or_b32 v2, v3, s14, v2
	v_bitop3_b32 v3, v6, s2, v5 bitop3:0xc8
	v_lshl_or_b32 v2, v2, 16, v3
	global_store_dword v[0:1], v2, off
.LBB0_31:
	s_endpgm
	.section	.rodata,"a",@progbits
	.p2align	6, 0x0
	.amdhsa_kernel bluestein_single_back_len315_dim1_half_op_CI_CI
		.amdhsa_group_segment_fixed_size 1260
		.amdhsa_private_segment_fixed_size 0
		.amdhsa_kernarg_size 104
		.amdhsa_user_sgpr_count 2
		.amdhsa_user_sgpr_dispatch_ptr 0
		.amdhsa_user_sgpr_queue_ptr 0
		.amdhsa_user_sgpr_kernarg_segment_ptr 1
		.amdhsa_user_sgpr_dispatch_id 0
		.amdhsa_user_sgpr_kernarg_preload_length 0
		.amdhsa_user_sgpr_kernarg_preload_offset 0
		.amdhsa_user_sgpr_private_segment_size 0
		.amdhsa_uses_dynamic_stack 0
		.amdhsa_enable_private_segment 0
		.amdhsa_system_sgpr_workgroup_id_x 1
		.amdhsa_system_sgpr_workgroup_id_y 0
		.amdhsa_system_sgpr_workgroup_id_z 0
		.amdhsa_system_sgpr_workgroup_info 0
		.amdhsa_system_vgpr_workitem_id 0
		.amdhsa_next_free_vgpr 61
		.amdhsa_next_free_sgpr 15
		.amdhsa_accum_offset 64
		.amdhsa_reserve_vcc 1
		.amdhsa_float_round_mode_32 0
		.amdhsa_float_round_mode_16_64 0
		.amdhsa_float_denorm_mode_32 3
		.amdhsa_float_denorm_mode_16_64 3
		.amdhsa_dx10_clamp 1
		.amdhsa_ieee_mode 1
		.amdhsa_fp16_overflow 0
		.amdhsa_tg_split 0
		.amdhsa_exception_fp_ieee_invalid_op 0
		.amdhsa_exception_fp_denorm_src 0
		.amdhsa_exception_fp_ieee_div_zero 0
		.amdhsa_exception_fp_ieee_overflow 0
		.amdhsa_exception_fp_ieee_underflow 0
		.amdhsa_exception_fp_ieee_inexact 0
		.amdhsa_exception_int_div_zero 0
	.end_amdhsa_kernel
	.text
.Lfunc_end0:
	.size	bluestein_single_back_len315_dim1_half_op_CI_CI, .Lfunc_end0-bluestein_single_back_len315_dim1_half_op_CI_CI
                                        ; -- End function
	.section	.AMDGPU.csdata,"",@progbits
; Kernel info:
; codeLenInByte = 10304
; NumSgprs: 21
; NumVgprs: 61
; NumAgprs: 0
; TotalNumVgprs: 61
; ScratchSize: 0
; MemoryBound: 0
; FloatMode: 240
; IeeeMode: 1
; LDSByteSize: 1260 bytes/workgroup (compile time only)
; SGPRBlocks: 2
; VGPRBlocks: 7
; NumSGPRsForWavesPerEU: 21
; NumVGPRsForWavesPerEU: 61
; AccumOffset: 64
; Occupancy: 8
; WaveLimiterHint : 1
; COMPUTE_PGM_RSRC2:SCRATCH_EN: 0
; COMPUTE_PGM_RSRC2:USER_SGPR: 2
; COMPUTE_PGM_RSRC2:TRAP_HANDLER: 0
; COMPUTE_PGM_RSRC2:TGID_X_EN: 1
; COMPUTE_PGM_RSRC2:TGID_Y_EN: 0
; COMPUTE_PGM_RSRC2:TGID_Z_EN: 0
; COMPUTE_PGM_RSRC2:TIDIG_COMP_CNT: 0
; COMPUTE_PGM_RSRC3_GFX90A:ACCUM_OFFSET: 15
; COMPUTE_PGM_RSRC3_GFX90A:TG_SPLIT: 0
	.text
	.p2alignl 6, 3212836864
	.fill 256, 4, 3212836864
	.type	__hip_cuid_72aa63c8a4941c4f,@object ; @__hip_cuid_72aa63c8a4941c4f
	.section	.bss,"aw",@nobits
	.globl	__hip_cuid_72aa63c8a4941c4f
__hip_cuid_72aa63c8a4941c4f:
	.byte	0                               ; 0x0
	.size	__hip_cuid_72aa63c8a4941c4f, 1

	.ident	"AMD clang version 19.0.0git (https://github.com/RadeonOpenCompute/llvm-project roc-6.4.0 25133 c7fe45cf4b819c5991fe208aaa96edf142730f1d)"
	.section	".note.GNU-stack","",@progbits
	.addrsig
	.addrsig_sym __hip_cuid_72aa63c8a4941c4f
	.amdgpu_metadata
---
amdhsa.kernels:
  - .agpr_count:     0
    .args:
      - .actual_access:  read_only
        .address_space:  global
        .offset:         0
        .size:           8
        .value_kind:     global_buffer
      - .actual_access:  read_only
        .address_space:  global
        .offset:         8
        .size:           8
        .value_kind:     global_buffer
      - .actual_access:  read_only
        .address_space:  global
        .offset:         16
        .size:           8
        .value_kind:     global_buffer
      - .actual_access:  read_only
        .address_space:  global
        .offset:         24
        .size:           8
        .value_kind:     global_buffer
      - .actual_access:  read_only
        .address_space:  global
        .offset:         32
        .size:           8
        .value_kind:     global_buffer
      - .offset:         40
        .size:           8
        .value_kind:     by_value
      - .address_space:  global
        .offset:         48
        .size:           8
        .value_kind:     global_buffer
      - .address_space:  global
        .offset:         56
        .size:           8
        .value_kind:     global_buffer
      - .address_space:  global
        .offset:         64
        .size:           8
        .value_kind:     global_buffer
      - .address_space:  global
        .offset:         72
        .size:           8
        .value_kind:     global_buffer
      - .offset:         80
        .size:           4
        .value_kind:     by_value
      - .address_space:  global
        .offset:         88
        .size:           8
        .value_kind:     global_buffer
      - .address_space:  global
        .offset:         96
        .size:           8
        .value_kind:     global_buffer
    .group_segment_fixed_size: 1260
    .kernarg_segment_align: 8
    .kernarg_segment_size: 104
    .language:       OpenCL C
    .language_version:
      - 2
      - 0
    .max_flat_workgroup_size: 63
    .name:           bluestein_single_back_len315_dim1_half_op_CI_CI
    .private_segment_fixed_size: 0
    .sgpr_count:     21
    .sgpr_spill_count: 0
    .symbol:         bluestein_single_back_len315_dim1_half_op_CI_CI.kd
    .uniform_work_group_size: 1
    .uses_dynamic_stack: false
    .vgpr_count:     61
    .vgpr_spill_count: 0
    .wavefront_size: 64
amdhsa.target:   amdgcn-amd-amdhsa--gfx950
amdhsa.version:
  - 1
  - 2
...

	.end_amdgpu_metadata
